;; amdgpu-corpus repo=ROCm/rocFFT kind=compiled arch=gfx1201 opt=O3
	.text
	.amdgcn_target "amdgcn-amd-amdhsa--gfx1201"
	.amdhsa_code_object_version 6
	.protected	bluestein_single_back_len1360_dim1_dp_op_CI_CI ; -- Begin function bluestein_single_back_len1360_dim1_dp_op_CI_CI
	.globl	bluestein_single_back_len1360_dim1_dp_op_CI_CI
	.p2align	8
	.type	bluestein_single_back_len1360_dim1_dp_op_CI_CI,@function
bluestein_single_back_len1360_dim1_dp_op_CI_CI: ; @bluestein_single_back_len1360_dim1_dp_op_CI_CI
; %bb.0:
	s_load_b128 s[8:11], s[0:1], 0x28
	v_mul_u32_u24_e32 v1, 0x304, v0
	s_mov_b32 s2, exec_lo
	s_delay_alu instid0(VALU_DEP_1) | instskip(NEXT) | instid1(VALU_DEP_1)
	v_lshrrev_b32_e32 v1, 16, v1
	v_mad_co_u64_u32 v[222:223], null, ttmp9, 3, v[1:2]
	v_mov_b32_e32 v223, 0
                                        ; kill: def $vgpr2 killed $sgpr0 killed $exec
	s_wait_kmcnt 0x0
	s_delay_alu instid0(VALU_DEP_1)
	v_cmpx_gt_u64_e64 s[8:9], v[222:223]
	s_cbranch_execz .LBB0_23
; %bb.1:
	v_mul_hi_u32 v2, 0xaaaaaaab, v222
	v_mul_lo_u16 v1, 0x55, v1
	s_clause 0x1
	s_load_b64 s[8:9], s[0:1], 0x0
	s_load_b64 s[12:13], s[0:1], 0x38
	s_delay_alu instid0(VALU_DEP_1) | instskip(NEXT) | instid1(VALU_DEP_3)
	v_sub_nc_u16 v0, v0, v1
	v_lshrrev_b32_e32 v2, 1, v2
	s_delay_alu instid0(VALU_DEP_2) | instskip(SKIP_1) | instid1(VALU_DEP_3)
	v_and_b32_e32 v223, 0xffff, v0
	v_cmp_gt_u16_e32 vcc_lo, 0x50, v0
	v_lshl_add_u32 v2, v2, 1, v2
	s_delay_alu instid0(VALU_DEP_3) | instskip(SKIP_1) | instid1(VALU_DEP_3)
	v_or_b32_e32 v0, 0x280, v223
	v_lshlrev_b32_e32 v255, 4, v223
	v_sub_nc_u32_e32 v1, v222, v2
	scratch_store_b32 off, v0, off offset:296 ; 4-byte Folded Spill
	v_or_b32_e32 v0, 0x500, v223
	v_mul_u32_u24_e32 v204, 0x550, v1
	scratch_store_b32 off, v0, off offset:292 ; 4-byte Folded Spill
	v_lshlrev_b32_e32 v229, 4, v204
	s_and_saveexec_b32 s3, vcc_lo
	s_cbranch_execz .LBB0_3
; %bb.2:
	s_load_b64 s[4:5], s[0:1], 0x18
	v_or_b32_e32 v44, 0x500, v223
	s_wait_kmcnt 0x0
	s_load_b128 s[4:7], s[4:5], 0x0
	s_wait_kmcnt 0x0
	v_mad_co_u64_u32 v[24:25], null, s6, v222, 0
	v_mad_co_u64_u32 v[40:41], null, s4, v223, 0
	;; [unrolled: 1-line block ×3, first 2 shown]
	s_delay_alu instid0(VALU_DEP_2) | instskip(NEXT) | instid1(VALU_DEP_1)
	v_dual_mov_b32 v0, v25 :: v_dual_mov_b32 v1, v41
	v_mad_co_u64_u32 v[8:9], null, s7, v222, v[0:1]
	v_mad_co_u64_u32 v[26:27], null, s5, v223, v[1:2]
	s_mul_u64 s[6:7], s[4:5], 0x500
	s_clause 0x1
	global_load_b128 v[0:3], v255, s[8:9]
	global_load_b128 v[4:7], v255, s[8:9] offset:1280
	v_mov_b32_e32 v25, v8
	s_clause 0x3
	global_load_b128 v[8:11], v255, s[8:9] offset:2560
	global_load_b128 v[12:15], v255, s[8:9] offset:3840
	;; [unrolled: 1-line block ×4, first 2 shown]
	v_mov_b32_e32 v41, v26
	v_lshlrev_b64_e32 v[42:43], 4, v[24:25]
	s_clause 0x3
	global_load_b128 v[24:27], v255, s[8:9] offset:7680
	global_load_b128 v[28:31], v255, s[8:9] offset:8960
	;; [unrolled: 1-line block ×4, first 2 shown]
	v_lshlrev_b64_e32 v[40:41], 4, v[40:41]
	v_add_co_u32 v62, s2, s10, v42
	s_delay_alu instid0(VALU_DEP_1) | instskip(SKIP_1) | instid1(VALU_DEP_3)
	v_add_co_ci_u32_e64 v63, s2, s11, v43, s2
	v_or_b32_e32 v42, 0x280, v223
	v_add_co_u32 v68, s2, v62, v40
	s_wait_alu 0xf1ff
	s_delay_alu instid0(VALU_DEP_3) | instskip(NEXT) | instid1(VALU_DEP_3)
	v_add_co_ci_u32_e64 v69, s2, v63, v41, s2
	v_mad_co_u64_u32 v[48:49], null, s4, v42, 0
	s_wait_alu 0xfffe
	v_add_co_u32 v72, s2, v68, s6
	s_wait_alu 0xf1ff
	v_add_co_ci_u32_e64 v73, s2, s7, v69, s2
	v_mov_b32_e32 v41, v57
	s_delay_alu instid0(VALU_DEP_3) | instskip(SKIP_1) | instid1(VALU_DEP_3)
	v_add_co_u32 v76, s2, v72, s6
	s_wait_alu 0xf1ff
	v_add_co_ci_u32_e64 v77, s2, s7, v73, s2
	v_mov_b32_e32 v40, v49
	s_delay_alu instid0(VALU_DEP_3) | instskip(SKIP_1) | instid1(VALU_DEP_3)
	v_add_co_u32 v80, s2, v76, s6
	s_wait_alu 0xf1ff
	v_add_co_ci_u32_e64 v81, s2, s7, v77, s2
	s_delay_alu instid0(VALU_DEP_3) | instskip(NEXT) | instid1(VALU_DEP_3)
	v_mad_co_u64_u32 v[42:43], null, s5, v42, v[40:41]
	v_add_co_u32 v84, s2, v80, s6
	s_wait_alu 0xf1ff
	s_delay_alu instid0(VALU_DEP_3) | instskip(NEXT) | instid1(VALU_DEP_2)
	v_add_co_ci_u32_e64 v85, s2, s7, v81, s2
	v_add_co_u32 v88, s2, v84, s6
	s_wait_alu 0xf1ff
	s_delay_alu instid0(VALU_DEP_2) | instskip(SKIP_1) | instid1(VALU_DEP_3)
	v_add_co_ci_u32_e64 v89, s2, s7, v85, s2
	v_mad_co_u64_u32 v[50:51], null, s5, v44, v[41:42]
	v_add_co_u32 v92, s2, v88, s6
	s_wait_alu 0xf1ff
	s_delay_alu instid0(VALU_DEP_3) | instskip(SKIP_1) | instid1(VALU_DEP_3)
	v_add_co_ci_u32_e64 v93, s2, s7, v89, s2
	v_mov_b32_e32 v49, v42
	v_add_co_u32 v96, s2, v92, s6
	s_wait_alu 0xf1ff
	s_delay_alu instid0(VALU_DEP_3)
	v_add_co_ci_u32_e64 v97, s2, s7, v93, s2
	v_mov_b32_e32 v57, v50
	v_lshlrev_b64_e32 v[58:59], 4, v[48:49]
	s_clause 0x1
	global_load_b128 v[40:43], v255, s[8:9] offset:12800
	global_load_b128 v[44:47], v255, s[8:9] offset:14080
	v_mad_co_u64_u32 v[100:101], null, 0xa00, s4, v[96:97]
	v_lshlrev_b64_e32 v[56:57], 4, v[56:57]
	s_clause 0x1
	global_load_b128 v[48:51], v255, s[8:9] offset:15360
	global_load_b128 v[52:55], v255, s[8:9] offset:16640
	v_add_co_u32 v60, s2, v62, v58
	s_wait_alu 0xf1ff
	v_add_co_ci_u32_e64 v61, s2, v63, v59, s2
	v_mov_b32_e32 v64, v101
	v_add_co_u32 v65, s2, v62, v56
	s_wait_alu 0xf1ff
	v_add_co_ci_u32_e64 v66, s2, v63, v57, s2
	v_add_co_u32 v104, s2, v100, s6
	s_delay_alu instid0(VALU_DEP_3)
	v_mad_co_u64_u32 v[94:95], null, 0xa00, s5, v[64:65]
	global_load_b128 v[56:59], v255, s[8:9] offset:20480
	s_clause 0x6
	global_load_b128 v[60:63], v[60:61], off
	global_load_b128 v[64:67], v[65:66], off
	;; [unrolled: 1-line block ×9, first 2 shown]
	v_mov_b32_e32 v101, v94
	global_load_b128 v[92:95], v[92:93], off
	s_wait_alu 0xf1ff
	v_add_co_ci_u32_e64 v105, s2, s7, v101, s2
	v_add_co_u32 v108, s2, v104, s6
	global_load_b128 v[100:103], v[100:101], off
	s_wait_alu 0xf1ff
	v_add_co_ci_u32_e64 v109, s2, s7, v105, s2
	v_add_co_u32 v112, s2, v108, s6
	global_load_b128 v[104:107], v[104:105], off
	s_wait_alu 0xf1ff
	v_add_co_ci_u32_e64 v113, s2, s7, v109, s2
	v_add_co_u32 v116, s2, v112, s6
	global_load_b128 v[108:111], v[108:109], off
	s_wait_alu 0xf1ff
	v_add_co_ci_u32_e64 v117, s2, s7, v113, s2
	v_add_co_u32 v120, s2, v116, s6
	global_load_b128 v[112:115], v[112:113], off
	s_wait_alu 0xf1ff
	v_add_co_ci_u32_e64 v121, s2, s7, v117, s2
	v_add_co_u32 v132, s2, v120, s6
	s_wait_alu 0xf1ff
	s_delay_alu instid0(VALU_DEP_2)
	v_add_co_ci_u32_e64 v133, s2, s7, v121, s2
	global_load_b128 v[116:119], v[116:117], off
	global_load_b128 v[120:123], v[120:121], off
	s_clause 0x1
	global_load_b128 v[124:127], v255, s[8:9] offset:17920
	global_load_b128 v[128:131], v255, s[8:9] offset:19200
	global_load_b128 v[132:135], v[132:133], off
	s_wait_loadcnt 0x10
	v_mul_f64_e32 v[136:137], v[70:71], v[2:3]
	v_mul_f64_e32 v[2:3], v[68:69], v[2:3]
	s_wait_loadcnt 0xf
	v_mul_f64_e32 v[142:143], v[74:75], v[6:7]
	v_mul_f64_e32 v[144:145], v[72:73], v[6:7]
	;; [unrolled: 1-line block ×4, first 2 shown]
	s_wait_loadcnt 0xe
	v_mul_f64_e32 v[146:147], v[78:79], v[10:11]
	v_mul_f64_e32 v[10:11], v[76:77], v[10:11]
	s_wait_loadcnt 0xd
	v_mul_f64_e32 v[148:149], v[82:83], v[14:15]
	v_mul_f64_e32 v[14:15], v[80:81], v[14:15]
	;; [unrolled: 3-line block ×5, first 2 shown]
	v_mul_f64_e32 v[156:157], v[98:99], v[30:31]
	v_mul_f64_e32 v[158:159], v[96:97], v[30:31]
	;; [unrolled: 1-line block ×3, first 2 shown]
	s_wait_loadcnt 0x8
	v_mul_f64_e32 v[160:161], v[102:103], v[38:39]
	v_mul_f64_e32 v[38:39], v[100:101], v[38:39]
	;; [unrolled: 1-line block ×3, first 2 shown]
	s_wait_loadcnt 0x7
	v_mul_f64_e32 v[162:163], v[106:107], v[42:43]
	v_mul_f64_e32 v[42:43], v[104:105], v[42:43]
	s_wait_loadcnt 0x6
	v_mul_f64_e32 v[164:165], v[110:111], v[46:47]
	v_mul_f64_e32 v[46:47], v[108:109], v[46:47]
	;; [unrolled: 3-line block ×6, first 2 shown]
	v_fma_f64 v[68:69], v[68:69], v[0:1], v[136:137]
	v_fma_f64 v[70:71], v[70:71], v[0:1], -v[2:3]
	v_fma_f64 v[0:1], v[60:61], v[32:33], v[138:139]
	v_fma_f64 v[2:3], v[62:63], v[32:33], -v[34:35]
	v_fma_f64 v[30:31], v[72:73], v[4:5], v[142:143]
	v_fma_f64 v[32:33], v[74:75], v[4:5], -v[144:145]
	v_fma_f64 v[58:59], v[76:77], v[8:9], v[146:147]
	v_fma_f64 v[60:61], v[78:79], v[8:9], -v[10:11]
	v_fma_f64 v[10:11], v[80:81], v[12:13], v[148:149]
	v_fma_f64 v[12:13], v[82:83], v[12:13], -v[14:15]
	v_fma_f64 v[14:15], v[84:85], v[16:17], v[150:151]
	v_fma_f64 v[16:17], v[86:87], v[16:17], -v[18:19]
	v_fma_f64 v[18:19], v[88:89], v[20:21], v[152:153]
	v_fma_f64 v[20:21], v[90:91], v[20:21], -v[22:23]
	v_fma_f64 v[22:23], v[92:93], v[24:25], v[154:155]
	v_fma_f64 v[24:25], v[94:95], v[24:25], -v[26:27]
	v_fma_f64 v[26:27], v[96:97], v[28:29], v[156:157]
	v_fma_f64 v[28:29], v[98:99], v[28:29], -v[158:159]
	v_fma_f64 v[34:35], v[100:101], v[36:37], v[160:161]
	v_fma_f64 v[36:37], v[102:103], v[36:37], -v[38:39]
	v_fma_f64 v[38:39], v[104:105], v[40:41], v[162:163]
	v_fma_f64 v[40:41], v[106:107], v[40:41], -v[42:43]
	v_fma_f64 v[6:7], v[64:65], v[56:57], v[140:141]
	v_fma_f64 v[42:43], v[108:109], v[44:45], v[164:165]
	v_fma_f64 v[44:45], v[110:111], v[44:45], -v[46:47]
	v_fma_f64 v[8:9], v[66:67], v[56:57], -v[174:175]
	v_lshl_add_u32 v4, v223, 4, v229
	v_add_nc_u32_e32 v5, v229, v255
	v_fma_f64 v[46:47], v[112:113], v[48:49], v[166:167]
	v_fma_f64 v[48:49], v[114:115], v[48:49], -v[50:51]
	v_fma_f64 v[50:51], v[116:117], v[52:53], v[168:169]
	v_fma_f64 v[52:53], v[118:119], v[52:53], -v[54:55]
	v_fma_f64 v[62:63], v[120:121], v[124:125], v[170:171]
	v_fma_f64 v[64:65], v[122:123], v[124:125], -v[126:127]
	v_fma_f64 v[72:73], v[132:133], v[128:129], v[172:173]
	v_fma_f64 v[74:75], v[134:135], v[128:129], -v[130:131]
	ds_store_b128 v4, v[68:71]
	ds_store_b128 v5, v[30:33] offset:1280
	ds_store_b128 v5, v[58:61] offset:2560
	;; [unrolled: 1-line block ×16, first 2 shown]
.LBB0_3:
	s_or_b32 exec_lo, exec_lo, s3
	global_wb scope:SCOPE_SE
	s_wait_storecnt_dscnt 0x0
	s_wait_kmcnt 0x0
	s_barrier_signal -1
	s_barrier_wait -1
	global_inv scope:SCOPE_SE
                                        ; implicit-def: $vgpr0_vgpr1
                                        ; implicit-def: $vgpr48_vgpr49
                                        ; implicit-def: $vgpr64_vgpr65
                                        ; implicit-def: $vgpr12_vgpr13
                                        ; implicit-def: $vgpr8_vgpr9
                                        ; implicit-def: $vgpr16_vgpr17
                                        ; implicit-def: $vgpr20_vgpr21
                                        ; implicit-def: $vgpr24_vgpr25
                                        ; implicit-def: $vgpr28_vgpr29
                                        ; implicit-def: $vgpr56_vgpr57
                                        ; implicit-def: $vgpr72_vgpr73
                                        ; implicit-def: $vgpr68_vgpr69
                                        ; implicit-def: $vgpr60_vgpr61
                                        ; implicit-def: $vgpr52_vgpr53
                                        ; implicit-def: $vgpr44_vgpr45
                                        ; implicit-def: $vgpr40_vgpr41
                                        ; implicit-def: $vgpr32_vgpr33
	s_and_saveexec_b32 s2, vcc_lo
	s_cbranch_execz .LBB0_5
; %bb.4:
	v_lshl_add_u32 v4, v204, 4, v255
	ds_load_b128 v[0:3], v4
	ds_load_b128 v[32:35], v4 offset:1280
	ds_load_b128 v[40:43], v4 offset:2560
	;; [unrolled: 1-line block ×16, first 2 shown]
.LBB0_5:
	s_wait_alu 0xfffe
	s_or_b32 exec_lo, exec_lo, s2
	s_wait_dscnt 0x0
	v_add_f64_e64 v[162:163], v[34:35], -v[10:11]
	v_add_f64_e64 v[168:169], v[32:33], -v[8:9]
	s_mov_b32 s6, 0x5d8e7cdc
	s_mov_b32 s14, 0x2a9d6da3
	s_mov_b32 s7, 0xbfd71e95
	s_mov_b32 s15, 0xbfe58eea
	v_add_f64_e32 v[160:161], v[8:9], v[32:33]
	v_add_f64_e32 v[166:167], v[10:11], v[34:35]
	v_add_f64_e64 v[90:91], v[42:43], -v[14:15]
	v_add_f64_e64 v[76:77], v[40:41], -v[12:13]
	s_mov_b32 s10, 0x370991
	s_mov_b32 s16, 0x75d4884
	s_mov_b32 s22, 0xeb564b22
	s_mov_b32 s11, 0x3fedd6d0
	s_mov_b32 s17, 0x3fe7a5f6
	s_mov_b32 s23, 0xbfefdd0d
	v_add_f64_e32 v[78:79], v[12:13], v[40:41]
	v_add_f64_e32 v[94:95], v[14:15], v[42:43]
	v_add_f64_e64 v[96:97], v[46:47], -v[18:19]
	v_add_f64_e64 v[80:81], v[44:45], -v[16:17]
	s_mov_b32 s18, 0x3259b75e
	s_mov_b32 s28, 0x7c9e640b
	;; [unrolled: 10-line block ×3, first 2 shown]
	s_mov_b32 s26, 0xacd6c6b4
	s_mov_b32 s31, 0x3fdc86fa
	;; [unrolled: 1-line block ×4, first 2 shown]
	v_add_f64_e32 v[86:87], v[20:21], v[52:53]
	v_add_f64_e32 v[110:111], v[22:23], v[54:55]
	s_wait_alu 0xfffe
	v_mul_f64_e32 v[176:177], s[6:7], v[162:163]
	v_mul_f64_e32 v[184:185], s[6:7], v[168:169]
	;; [unrolled: 1-line block ×4, first 2 shown]
	v_add_f64_e64 v[88:89], v[60:61], -v[24:25]
	v_add_f64_e64 v[114:115], v[62:63], -v[26:27]
	s_mov_b32 s34, 0x7faef3
	s_mov_b32 s36, 0x923c349f
	v_mul_f64_e32 v[136:137], s[14:15], v[90:91]
	v_mul_f64_e32 v[138:139], s[14:15], v[76:77]
	;; [unrolled: 1-line block ×4, first 2 shown]
	s_mov_b32 s38, 0x4363dd80
	s_mov_b32 s35, 0xbfef7484
	;; [unrolled: 1-line block ×4, first 2 shown]
	v_add_f64_e32 v[118:119], v[26:27], v[62:63]
	v_add_f64_e64 v[120:121], v[50:51], -v[30:31]
	v_mul_f64_e32 v[144:145], s[28:29], v[96:97]
	v_mul_f64_e32 v[148:149], s[28:29], v[80:81]
	;; [unrolled: 1-line block ×4, first 2 shown]
	s_mov_b32 s42, 0xc61f0d01
	s_mov_b32 s40, 0x910ea3b9
	;; [unrolled: 1-line block ×6, first 2 shown]
	v_mul_f64_e32 v[158:159], s[22:23], v[84:85]
	v_mul_f64_e32 v[152:153], s[22:23], v[106:107]
	;; [unrolled: 1-line block ×4, first 2 shown]
	v_add_f64_e64 v[124:125], v[70:71], -v[58:59]
	s_mov_b32 s49, 0xbfe0d888
	s_mov_b32 s45, 0x3feca52d
	;; [unrolled: 1-line block ×5, first 2 shown]
	v_fma_f64 v[4:5], v[160:161], s[10:11], v[176:177]
	v_fma_f64 v[6:7], v[166:167], s[10:11], -v[184:185]
	v_fma_f64 v[36:37], v[160:161], s[16:17], v[186:187]
	v_fma_f64 v[38:39], v[166:167], s[16:17], -v[192:193]
	v_mul_f64_e32 v[174:175], s[36:37], v[88:89]
	v_mul_f64_e32 v[172:173], s[36:37], v[114:115]
	v_mul_f64_e32 v[154:155], s[38:39], v[114:115]
	v_mul_f64_e32 v[156:157], s[38:39], v[88:89]
	v_fma_f64 v[92:93], v[78:79], s[16:17], v[136:137]
	v_fma_f64 v[98:99], v[94:95], s[16:17], -v[138:139]
	v_fma_f64 v[102:103], v[78:79], s[18:19], v[126:127]
	v_fma_f64 v[104:105], v[94:95], s[18:19], -v[130:131]
	s_mov_b32 s46, s6
	s_clause 0x1
	s_load_b64 s[4:5], s[0:1], 0x20
	s_load_b64 s[2:3], s[0:1], 0x8
	global_wb scope:SCOPE_SE
	s_wait_kmcnt 0x0
	s_barrier_signal -1
	s_barrier_wait -1
	v_mul_f64_e32 v[182:183], s[20:21], v[120:121]
	v_fma_f64 v[108:109], v[82:83], s[30:31], v[144:145]
	v_fma_f64 v[112:113], v[100:101], s[30:31], -v[148:149]
	v_fma_f64 v[116:117], v[82:83], s[24:25], v[140:141]
	v_fma_f64 v[122:123], v[100:101], s[24:25], -v[142:143]
	v_mul_f64_e32 v[164:165], s[50:51], v[120:121]
	global_inv scope:SCOPE_SE
	v_fma_f64 v[132:133], v[110:111], s[18:19], -v[158:159]
	v_fma_f64 v[128:129], v[86:87], s[18:19], v[152:153]
	v_fma_f64 v[134:135], v[86:87], s[34:35], v[146:147]
	v_fma_f64 v[178:179], v[110:111], s[34:35], -v[150:151]
	v_mul_f64_e32 v[196:197], s[48:49], v[124:125]
	v_add_f64_e32 v[4:5], v[0:1], v[4:5]
	v_add_f64_e32 v[6:7], v[2:3], v[6:7]
	;; [unrolled: 1-line block ×4, first 2 shown]
	v_fma_f64 v[190:191], v[118:119], s[42:43], -v[174:175]
	v_fma_f64 v[200:201], v[118:119], s[40:41], -v[156:157]
	v_add_f64_e32 v[4:5], v[92:93], v[4:5]
	v_add_f64_e32 v[6:7], v[98:99], v[6:7]
	;; [unrolled: 1-line block ×5, first 2 shown]
	v_add_f64_e64 v[98:99], v[48:49], -v[28:29]
	v_add_f64_e32 v[102:103], v[48:49], v[28:29]
	v_add_f64_e64 v[104:105], v[68:69], -v[56:57]
	v_add_f64_e32 v[4:5], v[108:109], v[4:5]
	v_add_f64_e32 v[6:7], v[112:113], v[6:7]
	;; [unrolled: 1-line block ×5, first 2 shown]
	v_mul_f64_e32 v[188:189], s[20:21], v[98:99]
	v_mul_f64_e32 v[170:171], s[50:51], v[98:99]
	v_fma_f64 v[116:117], v[92:93], s[42:43], v[172:173]
	v_fma_f64 v[194:195], v[92:93], s[40:41], v[154:155]
	v_add_f64_e32 v[108:109], v[56:57], v[68:69]
	v_add_f64_e64 v[112:113], v[72:73], -v[64:65]
	v_mul_f64_e32 v[198:199], s[48:49], v[104:105]
	v_mul_f64_e32 v[180:181], s[44:45], v[104:105]
	v_fma_f64 v[205:206], v[102:103], s[24:25], v[182:183]
	v_fma_f64 v[209:210], v[102:103], s[42:43], v[164:165]
	v_add_f64_e32 v[4:5], v[128:129], v[4:5]
	v_add_f64_e32 v[6:7], v[132:133], v[6:7]
	v_add_f64_e32 v[36:37], v[134:135], v[36:37]
	v_add_f64_e32 v[38:39], v[178:179], v[38:39]
	v_add_f64_e32 v[128:129], v[58:59], v[70:71]
	v_add_f64_e64 v[132:133], v[74:75], -v[66:67]
	v_mul_f64_e32 v[178:179], s[44:45], v[124:125]
	v_fma_f64 v[207:208], v[122:123], s[24:25], -v[188:189]
	v_fma_f64 v[211:212], v[122:123], s[42:43], -v[170:171]
	v_add_f64_e32 v[134:135], v[66:67], v[74:75]
	v_mul_f64_e32 v[202:203], s[26:27], v[112:113]
	v_fma_f64 v[213:214], v[108:109], s[40:41], v[196:197]
	v_add_f64_e32 v[4:5], v[116:117], v[4:5]
	v_add_f64_e32 v[6:7], v[190:191], v[6:7]
	;; [unrolled: 1-line block ×5, first 2 shown]
	v_mul_f64_e32 v[200:201], s[26:27], v[132:133]
	v_mul_f64_e32 v[190:191], s[46:47], v[132:133]
	;; [unrolled: 1-line block ×3, first 2 shown]
	v_fma_f64 v[215:216], v[128:129], s[40:41], -v[198:199]
	v_fma_f64 v[217:218], v[108:109], s[30:31], v[178:179]
	v_fma_f64 v[219:220], v[128:129], s[30:31], -v[180:181]
	v_add_f64_e32 v[4:5], v[205:206], v[4:5]
	v_add_f64_e32 v[6:7], v[207:208], v[6:7]
	;; [unrolled: 1-line block ×4, first 2 shown]
	v_fma_f64 v[207:208], v[134:135], s[34:35], -v[202:203]
	v_fma_f64 v[205:206], v[116:117], s[34:35], v[200:201]
	v_fma_f64 v[209:210], v[116:117], s[10:11], v[190:191]
	v_fma_f64 v[211:212], v[134:135], s[10:11], -v[194:195]
	v_add_f64_e32 v[4:5], v[213:214], v[4:5]
	v_add_f64_e32 v[6:7], v[215:216], v[6:7]
	;; [unrolled: 1-line block ×4, first 2 shown]
	s_delay_alu instid0(VALU_DEP_4) | instskip(NEXT) | instid1(VALU_DEP_4)
	v_add_f64_e32 v[4:5], v[205:206], v[4:5]
	v_add_f64_e32 v[6:7], v[207:208], v[6:7]
	s_delay_alu instid0(VALU_DEP_4) | instskip(NEXT) | instid1(VALU_DEP_4)
	v_add_f64_e32 v[36:37], v[209:210], v[36:37]
	v_add_f64_e32 v[38:39], v[211:212], v[38:39]
	s_and_saveexec_b32 s33, vcc_lo
	s_cbranch_execz .LBB0_7
; %bb.6:
	v_add_f64_e32 v[32:33], v[0:1], v[32:33]
	v_add_f64_e32 v[34:35], v[2:3], v[34:35]
	s_mov_b32 s53, 0x3fe9895b
	s_mov_b32 s52, s20
	;; [unrolled: 1-line block ×8, first 2 shown]
	v_mul_f64_e32 v[207:208], s[18:19], v[134:135]
	s_wait_alu 0xfffe
	v_mul_f64_e32 v[209:210], s[0:1], v[132:133]
	v_mul_f64_e32 v[211:212], s[24:25], v[134:135]
	;; [unrolled: 1-line block ×3, first 2 shown]
	v_add_f64_e32 v[32:33], v[40:41], v[32:33]
	v_add_f64_e32 v[34:35], v[42:43], v[34:35]
	v_mul_f64_e32 v[42:43], s[16:17], v[160:161]
	v_mul_f64_e32 v[40:41], s[16:17], v[166:167]
	s_delay_alu instid0(VALU_DEP_4) | instskip(NEXT) | instid1(VALU_DEP_4)
	v_add_f64_e32 v[32:33], v[44:45], v[32:33]
	v_add_f64_e32 v[34:35], v[46:47], v[34:35]
	v_mul_f64_e32 v[46:47], s[26:27], v[162:163]
	v_add_f64_e64 v[42:43], v[42:43], -v[186:187]
	v_mul_f64_e32 v[44:45], s[10:11], v[166:167]
	v_add_f64_e32 v[40:41], v[192:193], v[40:41]
	v_add_f64_e32 v[32:33], v[52:53], v[32:33]
	;; [unrolled: 1-line block ×3, first 2 shown]
	v_mul_f64_e32 v[52:53], s[36:37], v[162:163]
	v_mul_f64_e32 v[54:55], s[22:23], v[162:163]
	v_add_f64_e32 v[44:45], v[184:185], v[44:45]
	v_add_f64_e32 v[32:33], v[60:61], v[32:33]
	v_add_f64_e32 v[34:35], v[62:63], v[34:35]
	s_delay_alu instid0(VALU_DEP_2) | instskip(NEXT) | instid1(VALU_DEP_2)
	v_add_f64_e32 v[32:33], v[48:49], v[32:33]
	v_add_f64_e32 v[34:35], v[50:51], v[34:35]
	v_mul_f64_e32 v[48:49], s[48:49], v[162:163]
	v_mul_f64_e32 v[50:51], s[20:21], v[162:163]
	s_delay_alu instid0(VALU_DEP_4) | instskip(NEXT) | instid1(VALU_DEP_4)
	v_add_f64_e32 v[32:33], v[68:69], v[32:33]
	v_add_f64_e32 v[34:35], v[70:71], v[34:35]
	v_mul_f64_e32 v[70:71], s[10:11], v[160:161]
	v_fma_f64 v[60:61], v[160:161], s[40:41], v[48:49]
	v_fma_f64 v[48:49], v[160:161], s[40:41], -v[48:49]
	v_fma_f64 v[62:63], v[160:161], s[24:25], v[50:51]
	v_fma_f64 v[50:51], v[160:161], s[24:25], -v[50:51]
	v_add_f64_e32 v[32:33], v[72:73], v[32:33]
	v_add_f64_e32 v[34:35], v[74:75], v[34:35]
	v_add_f64_e64 v[70:71], v[70:71], -v[176:177]
	v_add_f64_e32 v[60:61], v[0:1], v[60:61]
	v_add_f64_e32 v[48:49], v[0:1], v[48:49]
	;; [unrolled: 1-line block ×6, first 2 shown]
	v_fma_f64 v[64:65], v[160:161], s[42:43], v[52:53]
	v_fma_f64 v[52:53], v[160:161], s[42:43], -v[52:53]
	v_fma_f64 v[66:67], v[160:161], s[18:19], v[54:55]
	v_fma_f64 v[54:55], v[160:161], s[18:19], -v[54:55]
	v_add_f64_e32 v[32:33], v[56:57], v[32:33]
	v_add_f64_e32 v[34:35], v[58:59], v[34:35]
	v_mul_f64_e32 v[56:57], s[28:29], v[162:163]
	v_fma_f64 v[58:59], v[160:161], s[34:35], v[46:47]
	v_fma_f64 v[46:47], v[160:161], s[34:35], -v[46:47]
	v_add_f64_e32 v[64:65], v[0:1], v[64:65]
	v_add_f64_e32 v[52:53], v[0:1], v[52:53]
	;; [unrolled: 1-line block ×6, first 2 shown]
	v_mul_f64_e32 v[32:33], s[30:31], v[166:167]
	v_fma_f64 v[68:69], v[160:161], s[30:31], v[56:57]
	v_fma_f64 v[56:57], v[160:161], s[30:31], -v[56:57]
	v_add_f64_e32 v[58:59], v[0:1], v[58:59]
	v_add_f64_e32 v[46:47], v[0:1], v[46:47]
	;; [unrolled: 1-line block ×4, first 2 shown]
	v_mul_f64_e32 v[28:29], s[18:19], v[166:167]
	v_fma_f64 v[34:35], v[168:169], s[44:45], v[32:33]
	v_fma_f64 v[32:33], v[168:169], s[28:29], v[32:33]
	v_add_f64_e32 v[68:69], v[0:1], v[68:69]
	v_add_f64_e32 v[20:21], v[20:21], v[24:25]
	;; [unrolled: 1-line block ×3, first 2 shown]
	v_mul_f64_e32 v[24:25], s[42:43], v[166:167]
	v_fma_f64 v[30:31], v[168:169], s[0:1], v[28:29]
	v_fma_f64 v[28:29], v[168:169], s[22:23], v[28:29]
	v_add_f64_e32 v[184:185], v[2:3], v[34:35]
	v_add_f64_e32 v[34:35], v[0:1], v[56:57]
	v_add_f64_e32 v[32:33], v[2:3], v[32:33]
	v_add_f64_e32 v[16:17], v[16:17], v[20:21]
	v_add_f64_e32 v[18:19], v[18:19], v[22:23]
	v_mul_f64_e32 v[20:21], s[24:25], v[166:167]
	v_fma_f64 v[26:27], v[168:169], s[50:51], v[24:25]
	v_fma_f64 v[24:25], v[168:169], s[36:37], v[24:25]
	v_add_f64_e32 v[176:177], v[2:3], v[28:29]
	v_add_f64_e32 v[28:29], v[2:3], v[40:41]
	;; [unrolled: 1-line block ×3, first 2 shown]
	v_mul_f64_e32 v[16:17], s[40:41], v[166:167]
	v_add_f64_e32 v[14:15], v[14:15], v[18:19]
	v_fma_f64 v[22:23], v[168:169], s[52:53], v[20:21]
	v_fma_f64 v[20:21], v[168:169], s[20:21], v[20:21]
	v_add_f64_e32 v[162:163], v[2:3], v[26:27]
	v_add_f64_e32 v[26:27], v[0:1], v[70:71]
	;; [unrolled: 1-line block ×3, first 2 shown]
	v_mul_f64_e32 v[12:13], s[34:35], v[166:167]
	v_fma_f64 v[18:19], v[168:169], s[38:39], v[16:17]
	v_fma_f64 v[16:17], v[168:169], s[48:49], v[16:17]
	v_add_f64_e32 v[10:11], v[10:11], v[14:15]
	v_add_f64_e32 v[160:161], v[2:3], v[20:21]
	v_mul_f64_e32 v[20:21], s[40:41], v[100:101]
	v_add_f64_e32 v[74:75], v[2:3], v[22:23]
	v_add_f64_e32 v[166:167], v[2:3], v[24:25]
	;; [unrolled: 1-line block ×3, first 2 shown]
	v_fma_f64 v[14:15], v[168:169], s[54:55], v[12:13]
	v_fma_f64 v[12:13], v[168:169], s[26:27], v[12:13]
	v_add_f64_e32 v[72:73], v[2:3], v[16:17]
	v_mul_f64_e32 v[16:17], s[10:11], v[94:95]
	v_add_f64_e32 v[168:169], v[2:3], v[30:31]
	v_add_f64_e32 v[30:31], v[0:1], v[42:43]
	v_fma_f64 v[22:23], v[80:81], s[38:39], v[20:21]
	v_add_f64_e32 v[18:19], v[2:3], v[18:19]
	v_add_f64_e32 v[14:15], v[2:3], v[14:15]
	;; [unrolled: 1-line block ×3, first 2 shown]
	v_fma_f64 v[0:1], v[76:77], s[6:7], v[16:17]
	v_fma_f64 v[16:17], v[76:77], s[46:47], v[16:17]
	s_delay_alu instid0(VALU_DEP_2) | instskip(SKIP_1) | instid1(VALU_DEP_3)
	v_add_f64_e32 v[0:1], v[0:1], v[14:15]
	v_mul_f64_e32 v[14:15], s[46:47], v[90:91]
	v_add_f64_e32 v[12:13], v[16:17], v[12:13]
	v_fma_f64 v[16:17], v[80:81], s[48:49], v[20:21]
	v_fma_f64 v[20:21], v[116:117], s[18:19], -v[209:210]
	v_add_f64_e32 v[0:1], v[22:23], v[0:1]
	v_fma_f64 v[2:3], v[78:79], s[10:11], v[14:15]
	v_mul_f64_e32 v[22:23], s[48:49], v[96:97]
	v_fma_f64 v[14:15], v[78:79], s[10:11], -v[14:15]
	v_add_f64_e32 v[12:13], v[16:17], v[12:13]
	s_delay_alu instid0(VALU_DEP_4) | instskip(NEXT) | instid1(VALU_DEP_4)
	v_add_f64_e32 v[2:3], v[2:3], v[58:59]
	v_fma_f64 v[40:41], v[82:83], s[40:41], v[22:23]
	s_delay_alu instid0(VALU_DEP_4) | instskip(SKIP_2) | instid1(VALU_DEP_4)
	v_add_f64_e32 v[14:15], v[14:15], v[46:47]
	v_fma_f64 v[16:17], v[82:83], s[40:41], -v[22:23]
	v_mul_f64_e32 v[22:23], s[44:45], v[90:91]
	v_add_f64_e32 v[2:3], v[40:41], v[2:3]
	v_mul_f64_e32 v[40:41], s[16:17], v[110:111]
	s_delay_alu instid0(VALU_DEP_4) | instskip(NEXT) | instid1(VALU_DEP_2)
	v_add_f64_e32 v[14:15], v[16:17], v[14:15]
	v_fma_f64 v[42:43], v[84:85], s[14:15], v[40:41]
	v_fma_f64 v[16:17], v[84:85], s[56:57], v[40:41]
	v_mul_f64_e32 v[40:41], s[18:19], v[100:101]
	s_delay_alu instid0(VALU_DEP_3) | instskip(SKIP_1) | instid1(VALU_DEP_4)
	v_add_f64_e32 v[0:1], v[42:43], v[0:1]
	v_mul_f64_e32 v[42:43], s[56:57], v[106:107]
	v_add_f64_e32 v[12:13], v[16:17], v[12:13]
	s_delay_alu instid0(VALU_DEP_2) | instskip(SKIP_3) | instid1(VALU_DEP_4)
	v_fma_f64 v[44:45], v[86:87], s[16:17], v[42:43]
	v_fma_f64 v[16:17], v[86:87], s[16:17], -v[42:43]
	v_fma_f64 v[42:43], v[80:81], s[0:1], v[40:41]
	v_fma_f64 v[40:41], v[80:81], s[22:23], v[40:41]
	v_add_f64_e32 v[2:3], v[44:45], v[2:3]
	v_mul_f64_e32 v[44:45], s[24:25], v[118:119]
	v_add_f64_e32 v[14:15], v[16:17], v[14:15]
	s_delay_alu instid0(VALU_DEP_2) | instskip(SKIP_1) | instid1(VALU_DEP_2)
	v_fma_f64 v[56:57], v[88:89], s[52:53], v[44:45]
	v_fma_f64 v[16:17], v[88:89], s[20:21], v[44:45]
	v_add_f64_e32 v[0:1], v[56:57], v[0:1]
	v_mul_f64_e32 v[56:57], s[20:21], v[114:115]
	s_delay_alu instid0(VALU_DEP_3) | instskip(NEXT) | instid1(VALU_DEP_2)
	v_add_f64_e32 v[12:13], v[16:17], v[12:13]
	v_fma_f64 v[58:59], v[92:93], s[24:25], v[56:57]
	v_fma_f64 v[16:17], v[92:93], s[24:25], -v[56:57]
	s_delay_alu instid0(VALU_DEP_2) | instskip(SKIP_1) | instid1(VALU_DEP_3)
	v_add_f64_e32 v[2:3], v[58:59], v[2:3]
	v_mul_f64_e32 v[58:59], s[30:31], v[122:123]
	v_add_f64_e32 v[14:15], v[16:17], v[14:15]
	s_delay_alu instid0(VALU_DEP_2) | instskip(SKIP_1) | instid1(VALU_DEP_2)
	v_fma_f64 v[70:71], v[98:99], s[28:29], v[58:59]
	v_fma_f64 v[16:17], v[98:99], s[44:45], v[58:59]
	v_add_f64_e32 v[0:1], v[70:71], v[0:1]
	v_mul_f64_e32 v[70:71], s[44:45], v[120:121]
	s_delay_alu instid0(VALU_DEP_3) | instskip(NEXT) | instid1(VALU_DEP_2)
	v_add_f64_e32 v[12:13], v[16:17], v[12:13]
	v_fma_f64 v[186:187], v[102:103], s[30:31], v[70:71]
	v_fma_f64 v[16:17], v[102:103], s[30:31], -v[70:71]
	s_delay_alu instid0(VALU_DEP_2) | instskip(SKIP_1) | instid1(VALU_DEP_3)
	v_add_f64_e32 v[2:3], v[186:187], v[2:3]
	v_mul_f64_e32 v[186:187], s[42:43], v[128:129]
	v_add_f64_e32 v[14:15], v[16:17], v[14:15]
	s_delay_alu instid0(VALU_DEP_2) | instskip(SKIP_1) | instid1(VALU_DEP_2)
	v_fma_f64 v[192:193], v[104:105], s[50:51], v[186:187]
	v_fma_f64 v[16:17], v[104:105], s[36:37], v[186:187]
	v_add_f64_e32 v[0:1], v[192:193], v[0:1]
	v_mul_f64_e32 v[192:193], s[36:37], v[124:125]
	s_delay_alu instid0(VALU_DEP_3) | instskip(NEXT) | instid1(VALU_DEP_2)
	v_add_f64_e32 v[12:13], v[16:17], v[12:13]
	v_fma_f64 v[16:17], v[108:109], s[42:43], -v[192:193]
	v_fma_f64 v[205:206], v[108:109], s[42:43], v[192:193]
	s_delay_alu instid0(VALU_DEP_2) | instskip(SKIP_1) | instid1(VALU_DEP_3)
	v_add_f64_e32 v[16:17], v[16:17], v[14:15]
	v_fma_f64 v[14:15], v[112:113], s[0:1], v[207:208]
	v_add_f64_e32 v[205:206], v[205:206], v[2:3]
	v_fma_f64 v[2:3], v[112:113], s[22:23], v[207:208]
	v_mul_f64_e32 v[207:208], s[42:43], v[134:135]
	s_delay_alu instid0(VALU_DEP_4)
	v_add_f64_e32 v[14:15], v[14:15], v[12:13]
	v_add_f64_e32 v[12:13], v[20:21], v[16:17]
	v_mul_f64_e32 v[20:21], s[30:31], v[94:95]
	v_add_f64_e32 v[2:3], v[2:3], v[0:1]
	v_fma_f64 v[0:1], v[116:117], s[18:19], v[209:210]
	v_mul_f64_e32 v[209:210], s[36:37], v[132:133]
	s_delay_alu instid0(VALU_DEP_4) | instskip(SKIP_1) | instid1(VALU_DEP_4)
	v_fma_f64 v[16:17], v[76:77], s[28:29], v[20:21]
	v_fma_f64 v[20:21], v[76:77], s[44:45], v[20:21]
	v_add_f64_e32 v[0:1], v[0:1], v[205:206]
	s_delay_alu instid0(VALU_DEP_3) | instskip(SKIP_1) | instid1(VALU_DEP_4)
	v_add_f64_e32 v[16:17], v[16:17], v[18:19]
	v_fma_f64 v[18:19], v[78:79], s[30:31], v[22:23]
	v_add_f64_e32 v[20:21], v[20:21], v[72:73]
	v_fma_f64 v[22:23], v[78:79], s[30:31], -v[22:23]
	v_mul_f64_e32 v[72:73], s[20:21], v[90:91]
	v_add_f64_e32 v[16:17], v[42:43], v[16:17]
	v_mul_f64_e32 v[42:43], s[22:23], v[96:97]
	v_add_f64_e32 v[18:19], v[18:19], v[60:61]
	v_add_f64_e32 v[22:23], v[22:23], v[48:49]
	;; [unrolled: 1-line block ×3, first 2 shown]
	v_mul_f64_e32 v[48:49], s[30:31], v[82:83]
	v_fma_f64 v[44:45], v[82:83], s[18:19], v[42:43]
	v_fma_f64 v[40:41], v[82:83], s[18:19], -v[42:43]
	v_fma_f64 v[42:43], v[116:117], s[42:43], -v[209:210]
	s_delay_alu instid0(VALU_DEP_4) | instskip(SKIP_4) | instid1(VALU_DEP_2)
	v_add_f64_e64 v[48:49], v[48:49], -v[144:145]
	v_mul_f64_e32 v[144:145], s[10:11], v[122:123]
	v_add_f64_e32 v[18:19], v[44:45], v[18:19]
	v_mul_f64_e32 v[44:45], s[24:25], v[110:111]
	v_add_f64_e32 v[22:23], v[40:41], v[22:23]
	v_fma_f64 v[46:47], v[84:85], s[20:21], v[44:45]
	v_fma_f64 v[40:41], v[84:85], s[52:53], v[44:45]
	v_mul_f64_e32 v[44:45], s[16:17], v[94:95]
	s_delay_alu instid0(VALU_DEP_3) | instskip(SKIP_1) | instid1(VALU_DEP_4)
	v_add_f64_e32 v[16:17], v[46:47], v[16:17]
	v_mul_f64_e32 v[46:47], s[52:53], v[106:107]
	v_add_f64_e32 v[20:21], v[40:41], v[20:21]
	s_delay_alu instid0(VALU_DEP_4) | instskip(SKIP_1) | instid1(VALU_DEP_4)
	v_add_f64_e32 v[44:45], v[138:139], v[44:45]
	v_mul_f64_e32 v[138:139], s[50:51], v[106:107]
	v_fma_f64 v[56:57], v[86:87], s[24:25], v[46:47]
	v_fma_f64 v[40:41], v[86:87], s[24:25], -v[46:47]
	v_mul_f64_e32 v[46:47], s[18:19], v[86:87]
	v_add_f64_e32 v[24:25], v[44:45], v[24:25]
	v_mul_f64_e32 v[44:45], s[24:25], v[102:103]
	v_add_f64_e32 v[18:19], v[56:57], v[18:19]
	;; [unrolled: 2-line block ×3, first 2 shown]
	v_add_f64_e64 v[46:47], v[46:47], -v[152:153]
	v_add_f64_e64 v[44:45], v[44:45], -v[182:183]
	v_mul_f64_e32 v[152:153], s[40:41], v[134:135]
	v_mul_f64_e32 v[182:183], s[24:25], v[128:129]
	v_fma_f64 v[58:59], v[88:89], s[46:47], v[56:57]
	v_fma_f64 v[40:41], v[88:89], s[6:7], v[56:57]
	v_mul_f64_e32 v[56:57], s[16:17], v[78:79]
	s_delay_alu instid0(VALU_DEP_3) | instskip(SKIP_1) | instid1(VALU_DEP_4)
	v_add_f64_e32 v[16:17], v[58:59], v[16:17]
	v_mul_f64_e32 v[58:59], s[6:7], v[114:115]
	v_add_f64_e32 v[20:21], v[40:41], v[20:21]
	s_delay_alu instid0(VALU_DEP_4) | instskip(SKIP_1) | instid1(VALU_DEP_4)
	v_add_f64_e64 v[56:57], v[56:57], -v[136:137]
	v_mul_f64_e32 v[136:137], s[42:43], v[110:111]
	v_fma_f64 v[60:61], v[92:93], s[10:11], v[58:59]
	v_fma_f64 v[40:41], v[92:93], s[10:11], -v[58:59]
	s_delay_alu instid0(VALU_DEP_4)
	v_add_f64_e32 v[26:27], v[56:57], v[26:27]
	v_mul_f64_e32 v[58:59], s[42:43], v[118:119]
	v_mul_f64_e32 v[56:57], s[18:19], v[78:79]
	v_add_f64_e32 v[18:19], v[60:61], v[18:19]
	v_mul_f64_e32 v[60:61], s[34:35], v[122:123]
	v_add_f64_e32 v[22:23], v[40:41], v[22:23]
	v_add_f64_e32 v[26:27], v[48:49], v[26:27]
	;; [unrolled: 1-line block ×3, first 2 shown]
	v_mul_f64_e32 v[48:49], s[24:25], v[82:83]
	v_add_f64_e64 v[56:57], v[56:57], -v[126:127]
	v_mul_f64_e32 v[126:127], s[34:35], v[100:101]
	v_mul_f64_e32 v[174:175], s[30:31], v[118:119]
	v_fma_f64 v[70:71], v[98:99], s[54:55], v[60:61]
	v_fma_f64 v[40:41], v[98:99], s[26:27], v[60:61]
	v_mul_f64_e32 v[60:61], s[42:43], v[92:93]
	v_add_f64_e32 v[26:27], v[46:47], v[26:27]
	v_mul_f64_e32 v[46:47], s[34:35], v[134:135]
	v_add_f64_e64 v[48:49], v[48:49], -v[140:141]
	v_add_f64_e32 v[30:31], v[56:57], v[30:31]
	v_mul_f64_e32 v[140:141], s[16:17], v[118:119]
	v_mul_f64_e32 v[56:57], s[40:41], v[94:95]
	v_add_f64_e32 v[16:17], v[70:71], v[16:17]
	v_mul_f64_e32 v[70:71], s[26:27], v[120:121]
	v_add_f64_e32 v[20:21], v[40:41], v[20:21]
	v_add_f64_e64 v[60:61], v[60:61], -v[172:173]
	v_add_f64_e32 v[46:47], v[202:203], v[46:47]
	v_mul_f64_e32 v[172:173], s[46:47], v[106:107]
	v_add_f64_e32 v[30:31], v[48:49], v[30:31]
	v_mul_f64_e32 v[202:203], s[18:19], v[122:123]
	v_fma_f64 v[186:187], v[102:103], s[34:35], v[70:71]
	v_fma_f64 v[40:41], v[102:103], s[34:35], -v[70:71]
	v_mul_f64_e32 v[70:71], s[24:25], v[122:123]
	v_add_f64_e32 v[26:27], v[60:61], v[26:27]
	v_mul_f64_e32 v[60:61], s[40:41], v[92:93]
	v_add_f64_e32 v[18:19], v[186:187], v[18:19]
	;; [unrolled: 2-line block ×3, first 2 shown]
	v_add_f64_e32 v[70:71], v[188:189], v[70:71]
	v_add_f64_e32 v[26:27], v[44:45], v[26:27]
	v_mul_f64_e32 v[44:45], s[34:35], v[116:117]
	v_add_f64_e64 v[60:61], v[60:61], -v[154:155]
	v_mul_f64_e32 v[154:155], s[48:49], v[132:133]
	v_mul_f64_e32 v[188:189], s[16:17], v[134:135]
	v_fma_f64 v[192:193], v[104:105], s[14:15], v[186:187]
	v_fma_f64 v[40:41], v[104:105], s[56:57], v[186:187]
	v_mul_f64_e32 v[186:187], s[52:53], v[124:125]
	v_add_f64_e64 v[44:45], v[44:45], -v[200:201]
	v_mul_f64_e32 v[200:201], s[26:27], v[114:115]
	v_add_f64_e32 v[16:17], v[192:193], v[16:17]
	v_mul_f64_e32 v[192:193], s[56:57], v[124:125]
	v_add_f64_e32 v[20:21], v[40:41], v[20:21]
	s_delay_alu instid0(VALU_DEP_2) | instskip(SKIP_2) | instid1(VALU_DEP_3)
	v_fma_f64 v[40:41], v[108:109], s[16:17], -v[192:193]
	v_fma_f64 v[205:206], v[108:109], s[16:17], v[192:193]
	v_mul_f64_e32 v[192:193], s[56:57], v[96:97]
	v_add_f64_e32 v[40:41], v[40:41], v[22:23]
	v_fma_f64 v[22:23], v[112:113], s[36:37], v[207:208]
	s_delay_alu instid0(VALU_DEP_4) | instskip(SKIP_2) | instid1(VALU_DEP_4)
	v_add_f64_e32 v[205:206], v[205:206], v[18:19]
	v_fma_f64 v[18:19], v[112:113], s[50:51], v[207:208]
	v_mul_f64_e32 v[207:208], s[10:11], v[128:129]
	v_add_f64_e32 v[22:23], v[22:23], v[20:21]
	v_add_f64_e32 v[20:21], v[42:43], v[40:41]
	v_mul_f64_e32 v[42:43], s[30:31], v[100:101]
	v_mul_f64_e32 v[40:41], s[18:19], v[110:111]
	v_add_f64_e32 v[18:19], v[18:19], v[16:17]
	v_fma_f64 v[16:17], v[116:117], s[42:43], v[209:210]
	v_mul_f64_e32 v[209:210], s[6:7], v[124:125]
	v_add_f64_e32 v[42:43], v[148:149], v[42:43]
	v_add_f64_e32 v[40:41], v[158:159], v[40:41]
	v_mul_f64_e32 v[148:149], s[18:19], v[128:129]
	v_mul_f64_e32 v[158:159], s[42:43], v[100:101]
	v_add_f64_e32 v[16:17], v[16:17], v[205:206]
	v_mul_f64_e32 v[205:206], s[0:1], v[120:121]
	v_add_f64_e32 v[24:25], v[42:43], v[24:25]
	v_mul_f64_e32 v[42:43], s[40:41], v[128:129]
	s_delay_alu instid0(VALU_DEP_2) | instskip(SKIP_1) | instid1(VALU_DEP_3)
	v_add_f64_e32 v[24:25], v[40:41], v[24:25]
	v_mul_f64_e32 v[40:41], s[40:41], v[108:109]
	v_add_f64_e32 v[42:43], v[198:199], v[42:43]
	v_mul_f64_e32 v[198:199], s[34:35], v[118:119]
	s_delay_alu instid0(VALU_DEP_4) | instskip(NEXT) | instid1(VALU_DEP_4)
	v_add_f64_e32 v[24:25], v[58:59], v[24:25]
	v_add_f64_e64 v[40:41], v[40:41], -v[196:197]
	v_mul_f64_e32 v[58:59], s[40:41], v[118:119]
	v_mul_f64_e32 v[196:197], s[28:29], v[106:107]
	s_delay_alu instid0(VALU_DEP_4) | instskip(NEXT) | instid1(VALU_DEP_4)
	v_add_f64_e32 v[24:25], v[70:71], v[24:25]
	v_add_f64_e32 v[40:41], v[40:41], v[26:27]
	s_delay_alu instid0(VALU_DEP_4) | instskip(SKIP_4) | instid1(VALU_DEP_4)
	v_add_f64_e32 v[58:59], v[156:157], v[58:59]
	v_mul_f64_e32 v[70:71], s[42:43], v[122:123]
	v_mul_f64_e32 v[156:157], s[26:27], v[90:91]
	v_add_f64_e32 v[24:25], v[42:43], v[24:25]
	v_mul_f64_e32 v[42:43], s[24:25], v[100:101]
	v_add_f64_e32 v[70:71], v[170:171], v[70:71]
	v_mul_f64_e32 v[170:171], s[10:11], v[110:111]
	s_delay_alu instid0(VALU_DEP_4)
	v_add_f64_e32 v[26:27], v[46:47], v[24:25]
	v_add_f64_e32 v[24:25], v[44:45], v[40:41]
	v_mul_f64_e32 v[44:45], s[18:19], v[94:95]
	v_mul_f64_e32 v[40:41], s[34:35], v[110:111]
	v_add_f64_e32 v[42:43], v[142:143], v[42:43]
	v_mul_f64_e32 v[46:47], s[34:35], v[86:87]
	v_mul_f64_e32 v[142:143], s[56:57], v[114:115]
	v_add_f64_e32 v[44:45], v[130:131], v[44:45]
	v_add_f64_e32 v[40:41], v[150:151], v[40:41]
	v_mul_f64_e32 v[130:131], s[54:55], v[96:97]
	v_add_f64_e64 v[46:47], v[46:47], -v[146:147]
	v_mul_f64_e32 v[146:147], s[6:7], v[120:121]
	v_mul_f64_e32 v[150:151], s[22:23], v[124:125]
	v_add_f64_e32 v[28:29], v[44:45], v[28:29]
	v_mul_f64_e32 v[44:45], s[42:43], v[102:103]
	v_add_f64_e32 v[30:31], v[46:47], v[30:31]
	v_mul_f64_e32 v[46:47], s[10:11], v[134:135]
	s_delay_alu instid0(VALU_DEP_4) | instskip(NEXT) | instid1(VALU_DEP_4)
	v_add_f64_e32 v[28:29], v[42:43], v[28:29]
	v_add_f64_e64 v[44:45], v[44:45], -v[164:165]
	v_mul_f64_e32 v[42:43], s[30:31], v[128:129]
	v_add_f64_e32 v[30:31], v[60:61], v[30:31]
	v_add_f64_e32 v[46:47], v[194:195], v[46:47]
	v_mul_f64_e32 v[60:61], s[34:35], v[94:95]
	v_mul_f64_e32 v[164:165], s[50:51], v[96:97]
	v_mul_f64_e32 v[194:195], s[30:31], v[110:111]
	v_add_f64_e32 v[28:29], v[40:41], v[28:29]
	v_mul_f64_e32 v[40:41], s[30:31], v[108:109]
	v_add_f64_e32 v[42:43], v[180:181], v[42:43]
	v_add_f64_e32 v[30:31], v[44:45], v[30:31]
	v_mul_f64_e32 v[44:45], s[10:11], v[116:117]
	v_mul_f64_e32 v[180:181], s[48:49], v[120:121]
	v_add_f64_e32 v[28:29], v[58:59], v[28:29]
	v_add_f64_e64 v[40:41], v[40:41], -v[178:179]
	v_mul_f64_e32 v[178:179], s[40:41], v[122:123]
	v_mul_f64_e32 v[58:59], s[38:39], v[90:91]
	v_add_f64_e64 v[44:45], v[44:45], -v[190:191]
	v_mul_f64_e32 v[190:191], s[56:57], v[132:133]
	v_mul_f64_e32 v[132:133], s[44:45], v[132:133]
	v_add_f64_e32 v[28:29], v[70:71], v[28:29]
	v_add_f64_e32 v[40:41], v[40:41], v[30:31]
	v_mul_f64_e32 v[70:71], s[24:25], v[94:95]
	s_delay_alu instid0(VALU_DEP_3) | instskip(SKIP_1) | instid1(VALU_DEP_2)
	v_add_f64_e32 v[28:29], v[42:43], v[28:29]
	v_fma_f64 v[42:43], v[78:79], s[34:35], -v[156:157]
	v_add_f64_e32 v[30:31], v[46:47], v[28:29]
	v_add_f64_e32 v[28:29], v[44:45], v[40:41]
	v_fma_f64 v[40:41], v[76:77], s[20:21], v[70:71]
	v_fma_f64 v[44:45], v[80:81], s[50:51], v[158:159]
	v_add_f64_e32 v[42:43], v[42:43], v[54:55]
	v_fma_f64 v[46:47], v[78:79], s[40:41], -v[58:59]
	v_mul_f64_e32 v[54:55], s[50:51], v[90:91]
	v_fma_f64 v[58:59], v[78:79], s[40:41], v[58:59]
	v_add_f64_e32 v[32:33], v[40:41], v[32:33]
	v_fma_f64 v[40:41], v[78:79], s[24:25], -v[72:73]
	v_add_f64_e32 v[46:47], v[46:47], v[52:53]
	v_mul_f64_e32 v[52:53], s[42:43], v[94:95]
	v_fma_f64 v[90:91], v[78:79], s[42:43], -v[54:55]
	v_fma_f64 v[54:55], v[78:79], s[42:43], v[54:55]
	v_add_f64_e32 v[58:59], v[58:59], v[64:65]
	v_fma_f64 v[64:65], v[116:117], s[24:25], v[213:214]
	v_add_f64_e32 v[34:35], v[40:41], v[34:35]
	v_fma_f64 v[40:41], v[80:81], s[54:55], v[126:127]
	v_add_f64_e32 v[50:51], v[90:91], v[50:51]
	v_mul_f64_e32 v[90:91], s[10:11], v[100:101]
	v_add_f64_e32 v[54:55], v[54:55], v[62:63]
	s_delay_alu instid0(VALU_DEP_4) | instskip(SKIP_1) | instid1(VALU_DEP_4)
	v_add_f64_e32 v[32:33], v[40:41], v[32:33]
	v_fma_f64 v[40:41], v[82:83], s[34:35], -v[130:131]
	v_fma_f64 v[94:95], v[80:81], s[6:7], v[90:91]
	v_fma_f64 v[62:63], v[80:81], s[46:47], v[90:91]
	s_delay_alu instid0(VALU_DEP_3) | instskip(SKIP_1) | instid1(VALU_DEP_1)
	v_add_f64_e32 v[34:35], v[40:41], v[34:35]
	v_fma_f64 v[40:41], v[84:85], s[50:51], v[136:137]
	v_add_f64_e32 v[32:33], v[40:41], v[32:33]
	v_fma_f64 v[40:41], v[86:87], s[42:43], -v[138:139]
	s_delay_alu instid0(VALU_DEP_1) | instskip(SKIP_1) | instid1(VALU_DEP_1)
	v_add_f64_e32 v[34:35], v[40:41], v[34:35]
	v_fma_f64 v[40:41], v[88:89], s[56:57], v[140:141]
	v_add_f64_e32 v[32:33], v[40:41], v[32:33]
	v_fma_f64 v[40:41], v[92:93], s[16:17], -v[142:143]
	s_delay_alu instid0(VALU_DEP_1) | instskip(SKIP_1) | instid1(VALU_DEP_1)
	;; [unrolled: 5-line block ×4, first 2 shown]
	v_add_f64_e32 v[40:41], v[40:41], v[34:35]
	v_fma_f64 v[34:35], v[112:113], s[48:49], v[152:153]
	v_add_f64_e32 v[34:35], v[34:35], v[32:33]
	v_fma_f64 v[32:33], v[116:117], s[40:41], -v[154:155]
	s_delay_alu instid0(VALU_DEP_1) | instskip(SKIP_2) | instid1(VALU_DEP_2)
	v_add_f64_e32 v[32:33], v[32:33], v[40:41]
	v_fma_f64 v[40:41], v[76:77], s[26:27], v[60:61]
	v_fma_f64 v[60:61], v[76:77], s[54:55], v[60:61]
	v_add_f64_e32 v[40:41], v[40:41], v[176:177]
	v_mul_f64_e32 v[176:177], s[28:29], v[114:115]
	s_delay_alu instid0(VALU_DEP_3) | instskip(NEXT) | instid1(VALU_DEP_3)
	v_add_f64_e32 v[60:61], v[60:61], v[168:169]
	v_add_f64_e32 v[40:41], v[44:45], v[40:41]
	v_fma_f64 v[44:45], v[82:83], s[42:43], -v[164:165]
	s_delay_alu instid0(VALU_DEP_1) | instskip(SKIP_1) | instid1(VALU_DEP_1)
	v_add_f64_e32 v[42:43], v[44:45], v[42:43]
	v_fma_f64 v[44:45], v[84:85], s[46:47], v[170:171]
	v_add_f64_e32 v[40:41], v[44:45], v[40:41]
	v_fma_f64 v[44:45], v[86:87], s[10:11], -v[172:173]
	s_delay_alu instid0(VALU_DEP_1) | instskip(SKIP_1) | instid1(VALU_DEP_1)
	v_add_f64_e32 v[42:43], v[44:45], v[42:43]
	v_fma_f64 v[44:45], v[88:89], s[28:29], v[174:175]
	;; [unrolled: 5-line block ×5, first 2 shown]
	v_add_f64_e32 v[42:43], v[42:43], v[40:41]
	v_fma_f64 v[40:41], v[116:117], s[16:17], -v[190:191]
	s_delay_alu instid0(VALU_DEP_1) | instskip(SKIP_2) | instid1(VALU_DEP_2)
	v_add_f64_e32 v[40:41], v[40:41], v[44:45]
	v_fma_f64 v[44:45], v[76:77], s[38:39], v[56:57]
	v_fma_f64 v[56:57], v[76:77], s[48:49], v[56:57]
	v_add_f64_e32 v[44:45], v[44:45], v[166:167]
	v_mul_f64_e32 v[166:167], s[16:17], v[100:101]
	s_delay_alu instid0(VALU_DEP_3) | instskip(NEXT) | instid1(VALU_DEP_2)
	v_add_f64_e32 v[56:57], v[56:57], v[162:163]
	v_fma_f64 v[48:49], v[80:81], s[56:57], v[166:167]
	s_delay_alu instid0(VALU_DEP_1) | instskip(SKIP_1) | instid1(VALU_DEP_1)
	v_add_f64_e32 v[44:45], v[48:49], v[44:45]
	v_fma_f64 v[48:49], v[82:83], s[16:17], -v[192:193]
	v_add_f64_e32 v[46:47], v[48:49], v[46:47]
	v_fma_f64 v[48:49], v[84:85], s[28:29], v[194:195]
	s_delay_alu instid0(VALU_DEP_1) | instskip(SKIP_1) | instid1(VALU_DEP_1)
	v_add_f64_e32 v[44:45], v[48:49], v[44:45]
	v_fma_f64 v[48:49], v[86:87], s[30:31], -v[196:197]
	;; [unrolled: 5-line block ×6, first 2 shown]
	v_add_f64_e32 v[44:45], v[44:45], v[48:49]
	v_fma_f64 v[48:49], v[76:77], s[50:51], v[52:53]
	v_fma_f64 v[52:53], v[76:77], s[36:37], v[52:53]
	s_delay_alu instid0(VALU_DEP_2) | instskip(NEXT) | instid1(VALU_DEP_2)
	v_add_f64_e32 v[48:49], v[48:49], v[160:161]
	v_add_f64_e32 v[52:53], v[52:53], v[74:75]
	v_fma_f64 v[74:75], v[116:117], s[30:31], v[132:133]
	s_delay_alu instid0(VALU_DEP_3) | instskip(SKIP_1) | instid1(VALU_DEP_4)
	v_add_f64_e32 v[48:49], v[94:95], v[48:49]
	v_mul_f64_e32 v[94:95], s[6:7], v[96:97]
	v_add_f64_e32 v[52:53], v[62:63], v[52:53]
	s_delay_alu instid0(VALU_DEP_2) | instskip(SKIP_1) | instid1(VALU_DEP_2)
	v_fma_f64 v[96:97], v[82:83], s[10:11], -v[94:95]
	v_fma_f64 v[62:63], v[82:83], s[10:11], v[94:95]
	v_add_f64_e32 v[50:51], v[96:97], v[50:51]
	v_mul_f64_e32 v[96:97], s[40:41], v[110:111]
	s_delay_alu instid0(VALU_DEP_3) | instskip(NEXT) | instid1(VALU_DEP_2)
	v_add_f64_e32 v[54:55], v[62:63], v[54:55]
	v_fma_f64 v[100:101], v[84:85], s[48:49], v[96:97]
	v_fma_f64 v[62:63], v[84:85], s[38:39], v[96:97]
	s_delay_alu instid0(VALU_DEP_2) | instskip(SKIP_1) | instid1(VALU_DEP_3)
	v_add_f64_e32 v[48:49], v[100:101], v[48:49]
	v_mul_f64_e32 v[100:101], s[48:49], v[106:107]
	v_add_f64_e32 v[52:53], v[62:63], v[52:53]
	s_delay_alu instid0(VALU_DEP_2) | instskip(SKIP_1) | instid1(VALU_DEP_2)
	v_fma_f64 v[106:107], v[86:87], s[40:41], -v[100:101]
	v_fma_f64 v[62:63], v[86:87], s[40:41], v[100:101]
	v_add_f64_e32 v[50:51], v[106:107], v[50:51]
	v_mul_f64_e32 v[106:107], s[18:19], v[118:119]
	s_delay_alu instid0(VALU_DEP_3) | instskip(NEXT) | instid1(VALU_DEP_2)
	v_add_f64_e32 v[54:55], v[62:63], v[54:55]
	v_fma_f64 v[110:111], v[88:89], s[0:1], v[106:107]
	v_fma_f64 v[62:63], v[88:89], s[22:23], v[106:107]
	s_delay_alu instid0(VALU_DEP_2) | instskip(SKIP_1) | instid1(VALU_DEP_3)
	;; [unrolled: 13-line block ×3, first 2 shown]
	v_add_f64_e32 v[48:49], v[118:119], v[48:49]
	v_mul_f64_e32 v[118:119], s[14:15], v[120:121]
	v_add_f64_e32 v[52:53], v[62:63], v[52:53]
	s_delay_alu instid0(VALU_DEP_2) | instskip(SKIP_1) | instid1(VALU_DEP_2)
	v_fma_f64 v[120:121], v[102:103], s[16:17], -v[118:119]
	v_fma_f64 v[62:63], v[102:103], s[16:17], v[118:119]
	v_add_f64_e32 v[50:51], v[120:121], v[50:51]
	v_mul_f64_e32 v[120:121], s[34:35], v[128:129]
	s_delay_alu instid0(VALU_DEP_3) | instskip(SKIP_1) | instid1(VALU_DEP_3)
	v_add_f64_e32 v[54:55], v[62:63], v[54:55]
	v_mul_f64_e32 v[128:129], s[30:31], v[134:135]
	v_fma_f64 v[122:123], v[104:105], s[26:27], v[120:121]
	v_fma_f64 v[62:63], v[104:105], s[54:55], v[120:121]
	s_delay_alu instid0(VALU_DEP_2) | instskip(SKIP_1) | instid1(VALU_DEP_3)
	v_add_f64_e32 v[48:49], v[122:123], v[48:49]
	v_mul_f64_e32 v[122:123], s[26:27], v[124:125]
	v_add_f64_e32 v[52:53], v[62:63], v[52:53]
	s_delay_alu instid0(VALU_DEP_2) | instskip(SKIP_1) | instid1(VALU_DEP_2)
	v_fma_f64 v[62:63], v[108:109], s[34:35], v[122:123]
	v_fma_f64 v[124:125], v[108:109], s[34:35], -v[122:123]
	v_add_f64_e32 v[62:63], v[62:63], v[54:55]
	v_fma_f64 v[54:55], v[112:113], s[28:29], v[128:129]
	s_delay_alu instid0(VALU_DEP_3) | instskip(SKIP_1) | instid1(VALU_DEP_3)
	v_add_f64_e32 v[124:125], v[124:125], v[50:51]
	v_fma_f64 v[50:51], v[112:113], s[44:45], v[128:129]
	v_add_f64_e32 v[54:55], v[54:55], v[52:53]
	v_add_f64_e32 v[52:53], v[74:75], v[62:63]
	v_fma_f64 v[62:63], v[80:81], s[14:15], v[166:167]
	s_delay_alu instid0(VALU_DEP_4) | instskip(SKIP_1) | instid1(VALU_DEP_3)
	v_add_f64_e32 v[50:51], v[50:51], v[48:49]
	v_fma_f64 v[48:49], v[116:117], s[30:31], -v[132:133]
	v_add_f64_e32 v[56:57], v[62:63], v[56:57]
	v_fma_f64 v[62:63], v[82:83], s[16:17], v[192:193]
	s_delay_alu instid0(VALU_DEP_3) | instskip(NEXT) | instid1(VALU_DEP_2)
	v_add_f64_e32 v[48:49], v[48:49], v[124:125]
	v_add_f64_e32 v[58:59], v[62:63], v[58:59]
	v_fma_f64 v[62:63], v[84:85], s[44:45], v[194:195]
	s_delay_alu instid0(VALU_DEP_1) | instskip(SKIP_1) | instid1(VALU_DEP_1)
	v_add_f64_e32 v[56:57], v[62:63], v[56:57]
	v_fma_f64 v[62:63], v[86:87], s[30:31], v[196:197]
	v_add_f64_e32 v[58:59], v[62:63], v[58:59]
	v_fma_f64 v[62:63], v[88:89], s[54:55], v[198:199]
	s_delay_alu instid0(VALU_DEP_1) | instskip(SKIP_1) | instid1(VALU_DEP_1)
	v_add_f64_e32 v[56:57], v[62:63], v[56:57]
	v_fma_f64 v[62:63], v[92:93], s[34:35], v[200:201]
	;; [unrolled: 5-line block ×4, first 2 shown]
	v_add_f64_e32 v[62:63], v[62:63], v[58:59]
	v_fma_f64 v[58:59], v[112:113], s[52:53], v[211:212]
	s_delay_alu instid0(VALU_DEP_1) | instskip(NEXT) | instid1(VALU_DEP_3)
	v_add_f64_e32 v[58:59], v[58:59], v[56:57]
	v_add_f64_e32 v[56:57], v[64:65], v[62:63]
	v_fma_f64 v[62:63], v[78:79], s[34:35], v[156:157]
	v_fma_f64 v[64:65], v[80:81], s[36:37], v[158:159]
	s_delay_alu instid0(VALU_DEP_2) | instskip(NEXT) | instid1(VALU_DEP_2)
	v_add_f64_e32 v[62:63], v[62:63], v[66:67]
	v_add_f64_e32 v[60:61], v[64:65], v[60:61]
	v_fma_f64 v[64:65], v[82:83], s[42:43], v[164:165]
	v_fma_f64 v[66:67], v[116:117], s[16:17], v[190:191]
	s_delay_alu instid0(VALU_DEP_2) | instskip(SKIP_1) | instid1(VALU_DEP_1)
	v_add_f64_e32 v[62:63], v[64:65], v[62:63]
	v_fma_f64 v[64:65], v[84:85], s[6:7], v[170:171]
	v_add_f64_e32 v[60:61], v[64:65], v[60:61]
	v_fma_f64 v[64:65], v[86:87], s[10:11], v[172:173]
	s_delay_alu instid0(VALU_DEP_1) | instskip(SKIP_1) | instid1(VALU_DEP_1)
	v_add_f64_e32 v[62:63], v[64:65], v[62:63]
	v_fma_f64 v[64:65], v[88:89], s[44:45], v[174:175]
	v_add_f64_e32 v[60:61], v[64:65], v[60:61]
	v_fma_f64 v[64:65], v[92:93], s[30:31], v[176:177]
	s_delay_alu instid0(VALU_DEP_1) | instskip(SKIP_1) | instid1(VALU_DEP_1)
	;; [unrolled: 5-line block ×4, first 2 shown]
	v_add_f64_e32 v[64:65], v[64:65], v[62:63]
	v_fma_f64 v[62:63], v[112:113], s[14:15], v[188:189]
	v_add_f64_e32 v[62:63], v[62:63], v[60:61]
	s_delay_alu instid0(VALU_DEP_3) | instskip(SKIP_4) | instid1(VALU_DEP_4)
	v_add_f64_e32 v[60:61], v[66:67], v[64:65]
	v_fma_f64 v[64:65], v[76:77], s[52:53], v[70:71]
	v_fma_f64 v[66:67], v[78:79], s[24:25], v[72:73]
	;; [unrolled: 1-line block ×4, first 2 shown]
	v_add_f64_e32 v[64:65], v[64:65], v[184:185]
	s_delay_alu instid0(VALU_DEP_4) | instskip(SKIP_1) | instid1(VALU_DEP_3)
	v_add_f64_e32 v[66:67], v[66:67], v[68:69]
	v_fma_f64 v[68:69], v[84:85], s[36:37], v[136:137]
	v_add_f64_e32 v[64:65], v[70:71], v[64:65]
	v_fma_f64 v[70:71], v[86:87], s[42:43], v[138:139]
	s_delay_alu instid0(VALU_DEP_4) | instskip(SKIP_1) | instid1(VALU_DEP_4)
	v_add_f64_e32 v[66:67], v[72:73], v[66:67]
	v_fma_f64 v[72:73], v[88:89], s[14:15], v[140:141]
	v_add_f64_e32 v[64:65], v[68:69], v[64:65]
	v_fma_f64 v[68:69], v[92:93], s[16:17], v[142:143]
	s_delay_alu instid0(VALU_DEP_4) | instskip(SKIP_1) | instid1(VALU_DEP_4)
	;; [unrolled: 5-line block ×4, first 2 shown]
	v_add_f64_e32 v[66:67], v[72:73], v[66:67]
	v_fma_f64 v[72:73], v[112:113], s[38:39], v[152:153]
	v_add_f64_e32 v[64:65], v[68:69], v[64:65]
	v_fma_f64 v[68:69], v[116:117], s[40:41], v[154:155]
	s_delay_alu instid0(VALU_DEP_4) | instskip(NEXT) | instid1(VALU_DEP_3)
	v_add_f64_e32 v[70:71], v[70:71], v[66:67]
	v_add_f64_e32 v[66:67], v[72:73], v[64:65]
	s_delay_alu instid0(VALU_DEP_2) | instskip(SKIP_1) | instid1(VALU_DEP_1)
	v_add_f64_e32 v[64:65], v[68:69], v[70:71]
	v_mul_lo_u16 v68, v223, 17
	v_and_b32_e32 v68, 0xffff, v68
	s_delay_alu instid0(VALU_DEP_1)
	v_add_lshl_u32 v68, v204, v68, 4
	ds_store_b128 v68, v[8:11]
	ds_store_b128 v68, v[24:27] offset:16
	ds_store_b128 v68, v[28:31] offset:32
	;; [unrolled: 1-line block ×16, first 2 shown]
.LBB0_7:
	s_or_b32 exec_lo, exec_lo, s33
	v_add_lshl_u32 v228, v204, v223, 4
	global_wb scope:SCOPE_SE
	s_wait_dscnt 0x0
	s_barrier_signal -1
	s_barrier_wait -1
	global_inv scope:SCOPE_SE
	ds_load_b128 v[60:63], v228
	ds_load_b128 v[52:55], v228 offset:1360
	ds_load_b128 v[20:23], v228 offset:8704
	;; [unrolled: 1-line block ×14, first 2 shown]
	v_cmp_gt_u16_e64 s0, 17, v223
                                        ; implicit-def: $vgpr80_vgpr81
                                        ; implicit-def: $vgpr84_vgpr85
                                        ; implicit-def: $vgpr88_vgpr89
	s_delay_alu instid0(VALU_DEP_1)
	s_and_saveexec_b32 s1, s0
	s_cbranch_execz .LBB0_9
; %bb.8:
	ds_load_b128 v[36:39], v228 offset:4080
	ds_load_b128 v[4:7], v228 offset:8432
	ds_load_b128 v[80:83], v228 offset:12784
	ds_load_b128 v[84:87], v228 offset:17136
	ds_load_b128 v[88:91], v228 offset:21488
.LBB0_9:
	s_wait_alu 0xfffe
	s_or_b32 exec_lo, exec_lo, s1
	v_and_b32_e32 v16, 0xff, v223
	s_mov_b32 s14, 0x134454ff
	s_mov_b32 s15, 0x3fee6f0e
	;; [unrolled: 1-line block ×3, first 2 shown]
	s_wait_alu 0xfffe
	s_mov_b32 s16, s14
	v_mul_lo_u16 v16, 0xf1, v16
	s_mov_b32 s10, 0x4755a5e
	s_mov_b32 s11, 0x3fe2cf23
	;; [unrolled: 1-line block ×3, first 2 shown]
	s_wait_alu 0xfffe
	s_mov_b32 s18, s10
	v_lshrrev_b16 v142, 12, v16
	s_mov_b32 s20, 0x372fe950
	s_mov_b32 s21, 0x3fd3c6ef
	s_load_b128 s[4:7], s[4:5], 0x0
	s_delay_alu instid0(VALU_DEP_1) | instskip(NEXT) | instid1(VALU_DEP_1)
	v_mul_lo_u16 v16, v142, 17
	v_sub_nc_u16 v16, v223, v16
	s_delay_alu instid0(VALU_DEP_1) | instskip(NEXT) | instid1(VALU_DEP_1)
	v_and_b32_e32 v145, 0xff, v16
	v_lshlrev_b32_e32 v18, 6, v145
	global_load_b128 v[72:75], v18, s[2:3]
	s_wait_loadcnt_dscnt 0x8
	v_mul_f64_e32 v[16:17], v[26:27], v[74:75]
	s_delay_alu instid0(VALU_DEP_1) | instskip(SKIP_1) | instid1(VALU_DEP_1)
	v_fma_f64 v[126:127], v[24:25], v[72:73], -v[16:17]
	v_mul_f64_e32 v[16:17], v[24:25], v[74:75]
	v_fma_f64 v[124:125], v[26:27], v[72:73], v[16:17]
	global_load_b128 v[24:27], v18, s[2:3] offset:16
	s_wait_loadcnt 0x0
	v_mul_f64_e32 v[16:17], v[22:23], v[26:27]
	s_delay_alu instid0(VALU_DEP_1) | instskip(SKIP_1) | instid1(VALU_DEP_1)
	v_fma_f64 v[128:129], v[20:21], v[24:25], -v[16:17]
	v_mul_f64_e32 v[16:17], v[20:21], v[26:27]
	v_fma_f64 v[130:131], v[22:23], v[24:25], v[16:17]
	global_load_b128 v[19:22], v18, s[2:3] offset:32
	scratch_store_b128 off, v[72:75], off offset:16 ; 16-byte Folded Spill
	s_wait_loadcnt 0x0
	scratch_store_b128 off, v[19:22], off offset:32 ; 16-byte Folded Spill
	s_wait_dscnt 0x4
	v_mul_f64_e32 v[16:17], v[30:31], v[21:22]
	s_delay_alu instid0(VALU_DEP_1) | instskip(SKIP_1) | instid1(VALU_DEP_1)
	v_fma_f64 v[132:133], v[28:29], v[19:20], -v[16:17]
	v_mul_f64_e32 v[16:17], v[28:29], v[21:22]
	v_fma_f64 v[134:135], v[30:31], v[19:20], v[16:17]
	global_load_b128 v[18:21], v18, s[2:3] offset:48
	scratch_store_b128 off, v[24:27], off offset:48 ; 16-byte Folded Spill
	v_add_f64_e64 v[29:30], v[128:129], -v[132:133]
	v_add_f64_e64 v[23:24], v[130:131], -v[134:135]
	s_wait_loadcnt 0x0
	scratch_store_b128 off, v[18:21], off offset:64 ; 16-byte Folded Spill
	v_mul_f64_e32 v[16:17], v[32:33], v[20:21]
	s_delay_alu instid0(VALU_DEP_1) | instskip(SKIP_1) | instid1(VALU_DEP_1)
	v_fma_f64 v[136:137], v[34:35], v[18:19], v[16:17]
	v_mul_f64_e32 v[16:17], v[34:35], v[20:21]
	v_fma_f64 v[138:139], v[32:33], v[18:19], -v[16:17]
	v_add_nc_u16 v16, v223, 0x55
	s_delay_alu instid0(VALU_DEP_1) | instskip(NEXT) | instid1(VALU_DEP_1)
	v_and_b32_e32 v17, 0xff, v16
	v_mul_lo_u16 v17, 0xf1, v17
	s_delay_alu instid0(VALU_DEP_1) | instskip(NEXT) | instid1(VALU_DEP_1)
	v_lshrrev_b16 v140, 12, v17
	v_mul_lo_u16 v17, v140, 17
	s_delay_alu instid0(VALU_DEP_1) | instskip(NEXT) | instid1(VALU_DEP_1)
	v_sub_nc_u16 v16, v16, v17
	v_and_b32_e32 v141, 0xff, v16
	s_delay_alu instid0(VALU_DEP_1)
	v_lshlrev_b32_e32 v18, 6, v141
	v_add_f64_e64 v[27:28], v[126:127], -v[138:139]
	v_add_f64_e64 v[33:34], v[132:133], -v[138:139]
	global_load_b128 v[19:22], v18, s[2:3]
	s_wait_loadcnt 0x0
	v_mul_f64_e32 v[16:17], v[42:43], v[21:22]
	s_delay_alu instid0(VALU_DEP_1) | instskip(SKIP_1) | instid1(VALU_DEP_1)
	v_fma_f64 v[110:111], v[40:41], v[19:20], -v[16:17]
	v_mul_f64_e32 v[16:17], v[40:41], v[21:22]
	v_fma_f64 v[108:109], v[42:43], v[19:20], v[16:17]
	global_load_b128 v[40:43], v18, s[2:3] offset:16
	s_wait_loadcnt 0x0
	v_mul_f64_e32 v[16:17], v[50:51], v[42:43]
	s_delay_alu instid0(VALU_DEP_1) | instskip(SKIP_1) | instid1(VALU_DEP_1)
	v_fma_f64 v[114:115], v[48:49], v[40:41], -v[16:17]
	v_mul_f64_e32 v[16:17], v[48:49], v[42:43]
	v_fma_f64 v[116:117], v[50:51], v[40:41], v[16:17]
	global_load_b128 v[48:51], v18, s[2:3] offset:32
	s_wait_loadcnt_dscnt 0x2
	v_mul_f64_e32 v[16:17], v[58:59], v[50:51]
	s_delay_alu instid0(VALU_DEP_1) | instskip(SKIP_1) | instid1(VALU_DEP_1)
	v_fma_f64 v[118:119], v[56:57], v[48:49], -v[16:17]
	v_mul_f64_e32 v[16:17], v[56:57], v[50:51]
	v_fma_f64 v[112:113], v[58:59], v[48:49], v[16:17]
	global_load_b128 v[56:59], v18, s[2:3] offset:48
	s_wait_loadcnt 0x0
	v_mul_f64_e32 v[16:17], v[68:69], v[58:59]
	s_delay_alu instid0(VALU_DEP_1) | instskip(SKIP_1) | instid1(VALU_DEP_1)
	v_fma_f64 v[120:121], v[70:71], v[56:57], v[16:17]
	v_mul_f64_e32 v[16:17], v[70:71], v[58:59]
	v_fma_f64 v[122:123], v[68:69], v[56:57], -v[16:17]
	v_add_nc_u16 v16, v223, 0xaa
	s_delay_alu instid0(VALU_DEP_1) | instskip(NEXT) | instid1(VALU_DEP_1)
	v_and_b32_e32 v17, 0xff, v16
	v_mul_lo_u16 v17, 0xf1, v17
	s_delay_alu instid0(VALU_DEP_1) | instskip(NEXT) | instid1(VALU_DEP_1)
	v_lshrrev_b16 v143, 12, v17
	v_mul_lo_u16 v17, v143, 17
	s_delay_alu instid0(VALU_DEP_1) | instskip(NEXT) | instid1(VALU_DEP_1)
	v_sub_nc_u16 v16, v16, v17
	v_and_b32_e32 v144, 0xff, v16
	s_delay_alu instid0(VALU_DEP_1)
	v_lshlrev_b32_e32 v18, 6, v144
	s_clause 0x2
	global_load_b128 v[68:71], v18, s[2:3]
	global_load_b128 v[72:75], v18, s[2:3] offset:32
	global_load_b128 v[76:79], v18, s[2:3] offset:48
	s_wait_loadcnt 0x2
	v_mul_f64_e32 v[16:17], v[66:67], v[70:71]
	s_delay_alu instid0(VALU_DEP_1) | instskip(SKIP_1) | instid1(VALU_DEP_1)
	v_fma_f64 v[94:95], v[64:65], v[68:69], -v[16:17]
	v_mul_f64_e32 v[16:17], v[64:65], v[70:71]
	v_fma_f64 v[92:93], v[66:67], v[68:69], v[16:17]
	global_load_b128 v[64:67], v18, s[2:3] offset:16
	s_wait_loadcnt 0x0
	v_mul_f64_e32 v[16:17], v[14:15], v[66:67]
	s_delay_alu instid0(VALU_DEP_1) | instskip(SKIP_1) | instid1(VALU_DEP_1)
	v_fma_f64 v[98:99], v[12:13], v[64:65], -v[16:17]
	v_mul_f64_e32 v[12:13], v[12:13], v[66:67]
	v_fma_f64 v[100:101], v[14:15], v[64:65], v[12:13]
	s_wait_dscnt 0x1
	v_mul_f64_e32 v[12:13], v[10:11], v[74:75]
	s_delay_alu instid0(VALU_DEP_1) | instskip(SKIP_1) | instid1(VALU_DEP_1)
	v_fma_f64 v[102:103], v[8:9], v[72:73], -v[12:13]
	v_mul_f64_e32 v[8:9], v[8:9], v[74:75]
	v_fma_f64 v[96:97], v[10:11], v[72:73], v[8:9]
	s_wait_dscnt 0x0
	v_mul_f64_e32 v[8:9], v[2:3], v[78:79]
	s_delay_alu instid0(VALU_DEP_1) | instskip(SKIP_1) | instid1(VALU_DEP_1)
	v_fma_f64 v[104:105], v[0:1], v[76:77], -v[8:9]
	v_mul_f64_e32 v[0:1], v[0:1], v[78:79]
	v_fma_f64 v[106:107], v[2:3], v[76:77], v[0:1]
	v_add_nc_u32_e32 v0, 0xff, v223
	s_delay_alu instid0(VALU_DEP_1) | instskip(NEXT) | instid1(VALU_DEP_1)
	v_and_b32_e32 v1, 0xffff, v0
	v_mul_u32_u24_e32 v1, 0xf0f1, v1
	s_delay_alu instid0(VALU_DEP_1) | instskip(NEXT) | instid1(VALU_DEP_1)
	v_lshrrev_b32_e32 v1, 20, v1
	v_mul_lo_u16 v1, v1, 17
	s_delay_alu instid0(VALU_DEP_1) | instskip(NEXT) | instid1(VALU_DEP_1)
	v_sub_nc_u16 v12, v0, v1
	v_lshlrev_b16 v0, 2, v12
	s_delay_alu instid0(VALU_DEP_1) | instskip(NEXT) | instid1(VALU_DEP_1)
	v_and_b32_e32 v0, 0xffff, v0
	v_lshlrev_b32_e32 v13, 4, v0
	s_clause 0x1
	global_load_b128 v[8:11], v13, s[2:3]
	global_load_b128 v[14:17], v13, s[2:3] offset:16
	scratch_store_b128 off, v[19:22], off offset:80 ; 16-byte Folded Spill
	v_add_f64_e32 v[19:20], v[130:131], v[134:135]
	v_add_f64_e64 v[21:22], v[124:125], -v[136:137]
	s_delay_alu instid0(VALU_DEP_2) | instskip(NEXT) | instid1(VALU_DEP_1)
	v_fma_f64 v[19:20], v[19:20], -0.5, v[62:63]
	v_fma_f64 v[31:32], v[27:28], s[16:17], v[19:20]
	v_fma_f64 v[19:20], v[27:28], s[14:15], v[19:20]
	s_delay_alu instid0(VALU_DEP_2) | instskip(NEXT) | instid1(VALU_DEP_2)
	v_fma_f64 v[31:32], v[29:30], s[18:19], v[31:32]
	v_fma_f64 v[19:20], v[29:30], s[10:11], v[19:20]
	s_wait_loadcnt 0x1
	scratch_store_b128 off, v[8:11], off offset:300 ; 16-byte Folded Spill
	v_mul_f64_e32 v[0:1], v[6:7], v[10:11]
	v_mul_f64_e32 v[2:3], v[4:5], v[10:11]
	s_wait_loadcnt 0x0
	scratch_store_b128 off, v[14:17], off offset:316 ; 16-byte Folded Spill
	v_fma_f64 v[0:1], v[4:5], v[8:9], -v[0:1]
	v_fma_f64 v[8:9], v[6:7], v[8:9], v[2:3]
	v_mul_f64_e32 v[2:3], v[82:83], v[16:17]
	v_mul_f64_e32 v[4:5], v[80:81], v[16:17]
	s_delay_alu instid0(VALU_DEP_2) | instskip(NEXT) | instid1(VALU_DEP_2)
	v_fma_f64 v[2:3], v[80:81], v[14:15], -v[2:3]
	v_fma_f64 v[4:5], v[82:83], v[14:15], v[4:5]
	global_load_b128 v[14:17], v13, s[2:3] offset:32
	s_wait_loadcnt 0x0
	v_mul_f64_e32 v[6:7], v[86:87], v[16:17]
	v_mul_f64_e32 v[10:11], v[84:85], v[16:17]
	scratch_store_b128 off, v[14:17], off offset:332 ; 16-byte Folded Spill
	v_fma_f64 v[6:7], v[84:85], v[14:15], -v[6:7]
	v_fma_f64 v[10:11], v[86:87], v[14:15], v[10:11]
	global_load_b128 v[15:18], v13, s[2:3] offset:48
	s_wait_loadcnt 0x0
	v_mul_f64_e32 v[13:14], v[90:91], v[17:18]
	scratch_store_b128 off, v[15:18], off offset:348 ; 16-byte Folded Spill
	global_wb scope:SCOPE_SE
	s_wait_storecnt 0x0
	s_wait_kmcnt 0x0
	s_barrier_signal -1
	s_barrier_wait -1
	global_inv scope:SCOPE_SE
	v_fma_f64 v[80:81], v[88:89], v[15:16], -v[13:14]
	v_mul_f64_e32 v[13:14], v[88:89], v[17:18]
	v_add_f64_e64 v[17:18], v[136:137], -v[134:135]
	s_delay_alu instid0(VALU_DEP_2) | instskip(SKIP_2) | instid1(VALU_DEP_1)
	v_fma_f64 v[82:83], v[90:91], v[15:16], v[13:14]
	v_add_f64_e64 v[13:14], v[126:127], -v[128:129]
	v_add_f64_e64 v[15:16], v[138:139], -v[132:133]
	v_add_f64_e32 v[13:14], v[13:14], v[15:16]
	v_add_f64_e64 v[15:16], v[124:125], -v[130:131]
	s_delay_alu instid0(VALU_DEP_1) | instskip(SKIP_1) | instid1(VALU_DEP_2)
	v_add_f64_e32 v[15:16], v[15:16], v[17:18]
	v_add_f64_e32 v[17:18], v[128:129], v[132:133]
	v_fma_f64 v[90:91], v[15:16], s[20:21], v[19:20]
	s_delay_alu instid0(VALU_DEP_2)
	v_fma_f64 v[17:18], v[17:18], -0.5, v[60:61]
	v_add_f64_e32 v[19:20], v[62:63], v[124:125]
	v_fma_f64 v[86:87], v[15:16], s[20:21], v[31:32]
	v_add_f64_e32 v[15:16], v[124:125], v[136:137]
	v_add_f64_e64 v[31:32], v[130:131], -v[124:125]
	v_fma_f64 v[25:26], v[21:22], s[14:15], v[17:18]
	v_fma_f64 v[17:18], v[21:22], s[16:17], v[17:18]
	v_add_f64_e32 v[19:20], v[19:20], v[130:131]
	v_fma_f64 v[15:16], v[15:16], -0.5, v[62:63]
	s_delay_alu instid0(VALU_DEP_4) | instskip(NEXT) | instid1(VALU_DEP_4)
	v_fma_f64 v[25:26], v[23:24], s[10:11], v[25:26]
	v_fma_f64 v[17:18], v[23:24], s[18:19], v[17:18]
	s_delay_alu instid0(VALU_DEP_4) | instskip(NEXT) | instid1(VALU_DEP_3)
	v_add_f64_e32 v[19:20], v[19:20], v[134:135]
	v_fma_f64 v[84:85], v[13:14], s[20:21], v[25:26]
	s_delay_alu instid0(VALU_DEP_3) | instskip(SKIP_4) | instid1(VALU_DEP_4)
	v_fma_f64 v[88:89], v[13:14], s[20:21], v[17:18]
	v_add_f64_e32 v[17:18], v[60:61], v[126:127]
	v_add_f64_e32 v[13:14], v[126:127], v[138:139]
	v_add_f64_e64 v[25:26], v[128:129], -v[126:127]
	v_add_f64_e32 v[62:63], v[19:20], v[136:137]
	v_add_f64_e32 v[17:18], v[17:18], v[128:129]
	s_delay_alu instid0(VALU_DEP_4) | instskip(NEXT) | instid1(VALU_DEP_4)
	v_fma_f64 v[13:14], v[13:14], -0.5, v[60:61]
	v_add_f64_e32 v[25:26], v[25:26], v[33:34]
	v_add_f64_e64 v[33:34], v[118:119], -v[122:123]
	s_delay_alu instid0(VALU_DEP_4) | instskip(NEXT) | instid1(VALU_DEP_4)
	v_add_f64_e32 v[17:18], v[17:18], v[132:133]
	v_fma_f64 v[19:20], v[23:24], s[16:17], v[13:14]
	v_fma_f64 v[13:14], v[23:24], s[14:15], v[13:14]
	;; [unrolled: 1-line block ×4, first 2 shown]
	v_add_f64_e64 v[29:30], v[114:115], -v[118:119]
	v_add_f64_e32 v[60:61], v[17:18], v[138:139]
	v_add_f64_e64 v[17:18], v[134:135], -v[136:137]
	v_fma_f64 v[13:14], v[21:22], s[18:19], v[13:14]
	v_fma_f64 v[19:20], v[21:22], s[10:11], v[19:20]
	;; [unrolled: 1-line block ×4, first 2 shown]
	v_add_f64_e64 v[27:28], v[110:111], -v[122:123]
	v_add_f64_e64 v[23:24], v[116:117], -v[112:113]
	v_add_f64_e32 v[17:18], v[31:32], v[17:18]
	v_fma_f64 v[128:129], v[25:26], s[20:21], v[13:14]
	v_and_b32_e32 v13, 0xffff, v142
	v_fma_f64 v[124:125], v[25:26], s[20:21], v[19:20]
	v_add_f64_e32 v[19:20], v[116:117], v[112:113]
	s_delay_alu instid0(VALU_DEP_3) | instskip(NEXT) | instid1(VALU_DEP_1)
	v_mul_u32_u24_e32 v13, 0x55, v13
	v_add_nc_u32_e32 v13, v13, v145
	s_delay_alu instid0(VALU_DEP_1)
	v_add_lshl_u32 v35, v204, v13, 4
	v_add_f64_e64 v[13:14], v[110:111], -v[114:115]
	ds_store_b128 v35, v[60:63]
	v_fma_f64 v[130:131], v[17:18], s[20:21], v[15:16]
	v_add_f64_e64 v[15:16], v[122:123], -v[118:119]
	v_fma_f64 v[126:127], v[17:18], s[20:21], v[21:22]
	v_add_f64_e64 v[17:18], v[120:121], -v[112:113]
	v_fma_f64 v[19:20], v[19:20], -0.5, v[54:55]
	v_add_f64_e64 v[21:22], v[108:109], -v[120:121]
	v_add_f64_e32 v[13:14], v[13:14], v[15:16]
	v_add_f64_e64 v[15:16], v[108:109], -v[116:117]
	s_delay_alu instid0(VALU_DEP_4) | instskip(SKIP_1) | instid1(VALU_DEP_3)
	v_fma_f64 v[31:32], v[27:28], s[16:17], v[19:20]
	v_fma_f64 v[19:20], v[27:28], s[14:15], v[19:20]
	v_add_f64_e32 v[15:16], v[15:16], v[17:18]
	v_add_f64_e32 v[17:18], v[114:115], v[118:119]
	s_delay_alu instid0(VALU_DEP_4) | instskip(NEXT) | instid1(VALU_DEP_4)
	v_fma_f64 v[31:32], v[29:30], s[18:19], v[31:32]
	v_fma_f64 v[19:20], v[29:30], s[10:11], v[19:20]
	s_delay_alu instid0(VALU_DEP_3) | instskip(NEXT) | instid1(VALU_DEP_3)
	v_fma_f64 v[17:18], v[17:18], -0.5, v[52:53]
	v_fma_f64 v[62:63], v[15:16], s[20:21], v[31:32]
	s_delay_alu instid0(VALU_DEP_3)
	v_fma_f64 v[134:135], v[15:16], s[20:21], v[19:20]
	v_add_f64_e32 v[19:20], v[54:55], v[108:109]
	v_add_f64_e32 v[15:16], v[108:109], v[120:121]
	v_add_f64_e64 v[31:32], v[116:117], -v[108:109]
	v_fma_f64 v[25:26], v[21:22], s[14:15], v[17:18]
	v_fma_f64 v[17:18], v[21:22], s[16:17], v[17:18]
	v_add_f64_e32 v[19:20], v[19:20], v[116:117]
	v_fma_f64 v[15:16], v[15:16], -0.5, v[54:55]
	s_delay_alu instid0(VALU_DEP_4) | instskip(NEXT) | instid1(VALU_DEP_4)
	v_fma_f64 v[25:26], v[23:24], s[10:11], v[25:26]
	v_fma_f64 v[17:18], v[23:24], s[18:19], v[17:18]
	s_delay_alu instid0(VALU_DEP_4) | instskip(NEXT) | instid1(VALU_DEP_3)
	v_add_f64_e32 v[19:20], v[19:20], v[112:113]
	v_fma_f64 v[60:61], v[13:14], s[20:21], v[25:26]
	s_delay_alu instid0(VALU_DEP_3) | instskip(SKIP_4) | instid1(VALU_DEP_4)
	v_fma_f64 v[132:133], v[13:14], s[20:21], v[17:18]
	v_add_f64_e32 v[17:18], v[52:53], v[110:111]
	v_add_f64_e32 v[13:14], v[110:111], v[122:123]
	v_add_f64_e64 v[25:26], v[114:115], -v[110:111]
	v_add_f64_e32 v[54:55], v[19:20], v[120:121]
	v_add_f64_e32 v[17:18], v[17:18], v[114:115]
	s_delay_alu instid0(VALU_DEP_4) | instskip(NEXT) | instid1(VALU_DEP_4)
	v_fma_f64 v[13:14], v[13:14], -0.5, v[52:53]
	v_add_f64_e32 v[25:26], v[25:26], v[33:34]
	v_add_f64_e64 v[33:34], v[102:103], -v[104:105]
	s_delay_alu instid0(VALU_DEP_4) | instskip(NEXT) | instid1(VALU_DEP_4)
	v_add_f64_e32 v[17:18], v[17:18], v[118:119]
	v_fma_f64 v[19:20], v[23:24], s[16:17], v[13:14]
	v_fma_f64 v[13:14], v[23:24], s[14:15], v[13:14]
	;; [unrolled: 1-line block ×4, first 2 shown]
	v_add_f64_e64 v[29:30], v[98:99], -v[102:103]
	v_add_f64_e32 v[52:53], v[17:18], v[122:123]
	v_add_f64_e64 v[17:18], v[112:113], -v[120:121]
	v_fma_f64 v[13:14], v[21:22], s[18:19], v[13:14]
	v_fma_f64 v[19:20], v[21:22], s[10:11], v[19:20]
	;; [unrolled: 1-line block ×4, first 2 shown]
	v_add_f64_e64 v[27:28], v[94:95], -v[104:105]
	v_add_f64_e64 v[23:24], v[100:101], -v[96:97]
	v_add_f64_e32 v[17:18], v[31:32], v[17:18]
	v_fma_f64 v[112:113], v[25:26], s[20:21], v[13:14]
	v_add_f64_e64 v[13:14], v[94:95], -v[98:99]
	v_fma_f64 v[108:109], v[25:26], s[20:21], v[19:20]
	v_add_f64_e32 v[19:20], v[100:101], v[96:97]
	v_fma_f64 v[114:115], v[17:18], s[20:21], v[15:16]
	v_add_f64_e64 v[15:16], v[104:105], -v[102:103]
	v_fma_f64 v[110:111], v[17:18], s[20:21], v[21:22]
	v_add_f64_e64 v[17:18], v[106:107], -v[96:97]
	v_fma_f64 v[19:20], v[19:20], -0.5, v[46:47]
	v_add_f64_e64 v[21:22], v[92:93], -v[106:107]
	v_add_f64_e32 v[13:14], v[13:14], v[15:16]
	v_add_f64_e64 v[15:16], v[92:93], -v[100:101]
	s_delay_alu instid0(VALU_DEP_4) | instskip(SKIP_1) | instid1(VALU_DEP_3)
	v_fma_f64 v[31:32], v[27:28], s[16:17], v[19:20]
	v_fma_f64 v[19:20], v[27:28], s[14:15], v[19:20]
	v_add_f64_e32 v[15:16], v[15:16], v[17:18]
	v_add_f64_e32 v[17:18], v[98:99], v[102:103]
	s_delay_alu instid0(VALU_DEP_4) | instskip(NEXT) | instid1(VALU_DEP_4)
	v_fma_f64 v[31:32], v[29:30], s[18:19], v[31:32]
	v_fma_f64 v[19:20], v[29:30], s[10:11], v[19:20]
	s_delay_alu instid0(VALU_DEP_3) | instskip(NEXT) | instid1(VALU_DEP_3)
	v_fma_f64 v[17:18], v[17:18], -0.5, v[44:45]
	v_fma_f64 v[118:119], v[15:16], s[20:21], v[31:32]
	s_delay_alu instid0(VALU_DEP_3)
	v_fma_f64 v[122:123], v[15:16], s[20:21], v[19:20]
	v_add_f64_e32 v[19:20], v[46:47], v[92:93]
	v_add_f64_e32 v[15:16], v[92:93], v[106:107]
	v_add_f64_e64 v[31:32], v[100:101], -v[92:93]
	v_fma_f64 v[25:26], v[21:22], s[14:15], v[17:18]
	v_fma_f64 v[17:18], v[21:22], s[16:17], v[17:18]
	v_add_f64_e32 v[19:20], v[19:20], v[100:101]
	v_fma_f64 v[15:16], v[15:16], -0.5, v[46:47]
	s_delay_alu instid0(VALU_DEP_4) | instskip(NEXT) | instid1(VALU_DEP_4)
	v_fma_f64 v[25:26], v[23:24], s[10:11], v[25:26]
	v_fma_f64 v[17:18], v[23:24], s[18:19], v[17:18]
	s_delay_alu instid0(VALU_DEP_4) | instskip(NEXT) | instid1(VALU_DEP_3)
	v_add_f64_e32 v[19:20], v[19:20], v[96:97]
	v_fma_f64 v[116:117], v[13:14], s[20:21], v[25:26]
	s_delay_alu instid0(VALU_DEP_3) | instskip(SKIP_4) | instid1(VALU_DEP_4)
	v_fma_f64 v[120:121], v[13:14], s[20:21], v[17:18]
	v_add_f64_e32 v[17:18], v[44:45], v[94:95]
	v_add_f64_e32 v[13:14], v[94:95], v[104:105]
	v_add_f64_e64 v[25:26], v[98:99], -v[94:95]
	v_add_f64_e32 v[46:47], v[19:20], v[106:107]
	v_add_f64_e32 v[17:18], v[17:18], v[98:99]
	s_delay_alu instid0(VALU_DEP_4) | instskip(NEXT) | instid1(VALU_DEP_4)
	v_fma_f64 v[13:14], v[13:14], -0.5, v[44:45]
	v_add_f64_e32 v[25:26], v[25:26], v[33:34]
	s_delay_alu instid0(VALU_DEP_3) | instskip(NEXT) | instid1(VALU_DEP_3)
	v_add_f64_e32 v[17:18], v[17:18], v[102:103]
	v_fma_f64 v[19:20], v[23:24], s[16:17], v[13:14]
	v_fma_f64 v[13:14], v[23:24], s[14:15], v[13:14]
	;; [unrolled: 1-line block ×4, first 2 shown]
	v_add_f64_e64 v[29:30], v[2:3], -v[6:7]
	v_add_f64_e32 v[44:45], v[17:18], v[104:105]
	v_add_f64_e64 v[17:18], v[96:97], -v[106:107]
	v_fma_f64 v[13:14], v[21:22], s[18:19], v[13:14]
	v_fma_f64 v[19:20], v[21:22], s[10:11], v[19:20]
	;; [unrolled: 1-line block ×4, first 2 shown]
	v_add_f64_e64 v[27:28], v[0:1], -v[80:81]
	v_add_f64_e64 v[23:24], v[4:5], -v[10:11]
	v_add_f64_e32 v[17:18], v[31:32], v[17:18]
	v_fma_f64 v[96:97], v[25:26], s[20:21], v[13:14]
	v_add_f64_e64 v[13:14], v[0:1], -v[2:3]
	v_fma_f64 v[92:93], v[25:26], s[20:21], v[19:20]
	v_add_f64_e32 v[19:20], v[4:5], v[10:11]
	v_fma_f64 v[98:99], v[17:18], s[20:21], v[15:16]
	v_add_f64_e64 v[15:16], v[80:81], -v[6:7]
	v_fma_f64 v[94:95], v[17:18], s[20:21], v[21:22]
	v_add_f64_e64 v[17:18], v[82:83], -v[10:11]
	v_fma_f64 v[19:20], v[19:20], -0.5, v[38:39]
	v_add_f64_e64 v[21:22], v[8:9], -v[82:83]
	v_add_f64_e32 v[13:14], v[13:14], v[15:16]
	v_add_f64_e64 v[15:16], v[8:9], -v[4:5]
	s_delay_alu instid0(VALU_DEP_4) | instskip(SKIP_1) | instid1(VALU_DEP_3)
	v_fma_f64 v[31:32], v[27:28], s[16:17], v[19:20]
	v_fma_f64 v[19:20], v[27:28], s[14:15], v[19:20]
	v_add_f64_e32 v[15:16], v[15:16], v[17:18]
	v_add_f64_e32 v[17:18], v[2:3], v[6:7]
	s_delay_alu instid0(VALU_DEP_4) | instskip(NEXT) | instid1(VALU_DEP_4)
	v_fma_f64 v[31:32], v[29:30], s[18:19], v[31:32]
	v_fma_f64 v[19:20], v[29:30], s[10:11], v[19:20]
	s_delay_alu instid0(VALU_DEP_3) | instskip(NEXT) | instid1(VALU_DEP_3)
	v_fma_f64 v[17:18], v[17:18], -0.5, v[36:37]
	v_fma_f64 v[138:139], v[15:16], s[20:21], v[31:32]
	s_delay_alu instid0(VALU_DEP_3) | instskip(SKIP_4) | instid1(VALU_DEP_3)
	v_fma_f64 v[102:103], v[15:16], s[20:21], v[19:20]
	v_add_f64_e64 v[15:16], v[6:7], -v[80:81]
	v_add_f64_e32 v[19:20], v[8:9], v[82:83]
	v_fma_f64 v[25:26], v[21:22], s[14:15], v[17:18]
	v_fma_f64 v[17:18], v[21:22], s[16:17], v[17:18]
	v_fma_f64 v[19:20], v[19:20], -0.5, v[38:39]
	s_delay_alu instid0(VALU_DEP_3) | instskip(NEXT) | instid1(VALU_DEP_3)
	v_fma_f64 v[25:26], v[23:24], s[10:11], v[25:26]
	v_fma_f64 v[17:18], v[23:24], s[18:19], v[17:18]
	s_delay_alu instid0(VALU_DEP_2) | instskip(NEXT) | instid1(VALU_DEP_2)
	v_fma_f64 v[136:137], v[13:14], s[20:21], v[25:26]
	v_fma_f64 v[100:101], v[13:14], s[20:21], v[17:18]
	v_add_f64_e64 v[13:14], v[2:3], -v[0:1]
	v_add_f64_e64 v[25:26], v[4:5], -v[8:9]
	s_delay_alu instid0(VALU_DEP_2) | instskip(SKIP_1) | instid1(VALU_DEP_1)
	v_add_f64_e32 v[13:14], v[13:14], v[15:16]
	v_add_f64_e32 v[15:16], v[0:1], v[80:81]
	v_fma_f64 v[15:16], v[15:16], -0.5, v[36:37]
	s_delay_alu instid0(VALU_DEP_1)
	v_fma_f64 v[17:18], v[23:24], s[16:17], v[15:16]
	v_fma_f64 v[15:16], v[23:24], s[14:15], v[15:16]
	;; [unrolled: 1-line block ×4, first 2 shown]
	v_add_f64_e64 v[29:30], v[10:11], -v[82:83]
	v_fma_f64 v[17:18], v[21:22], s[10:11], v[17:18]
	v_fma_f64 v[15:16], v[21:22], s[18:19], v[15:16]
	;; [unrolled: 1-line block ×4, first 2 shown]
	v_add_f64_e32 v[25:26], v[25:26], v[29:30]
	v_fma_f64 v[104:105], v[13:14], s[20:21], v[17:18]
	v_fma_f64 v[13:14], v[13:14], s[20:21], v[15:16]
	s_delay_alu instid0(VALU_DEP_3)
	v_fma_f64 v[15:16], v[25:26], s[20:21], v[19:20]
	v_fma_f64 v[106:107], v[25:26], s[20:21], v[21:22]
	scratch_store_b128 off, v[13:16], off   ; 16-byte Folded Spill
	v_and_b32_e32 v13, 0xffff, v140
	ds_store_b128 v35, v[84:87] offset:272
	ds_store_b128 v35, v[124:127] offset:544
	;; [unrolled: 1-line block ×3, first 2 shown]
	scratch_store_b32 off, v35, off offset:160 ; 4-byte Folded Spill
	ds_store_b128 v35, v[88:91] offset:1088
	v_mul_u32_u24_e32 v13, 0x55, v13
	s_delay_alu instid0(VALU_DEP_1) | instskip(NEXT) | instid1(VALU_DEP_1)
	v_add_nc_u32_e32 v13, v13, v141
	v_add_lshl_u32 v252, v204, v13, 4
	v_and_b32_e32 v13, 0xffff, v143
	ds_store_b128 v252, v[52:55]
	ds_store_b128 v252, v[60:63] offset:272
	ds_store_b128 v252, v[108:111] offset:544
	;; [unrolled: 1-line block ×4, first 2 shown]
	v_mul_u32_u24_e32 v13, 0x55, v13
	s_delay_alu instid0(VALU_DEP_1) | instskip(NEXT) | instid1(VALU_DEP_1)
	v_add_nc_u32_e32 v13, v13, v144
	v_add_lshl_u32 v108, v204, v13, 4
	ds_store_b128 v108, v[44:47]
	ds_store_b128 v108, v[116:119] offset:272
	ds_store_b128 v108, v[92:95] offset:544
	;; [unrolled: 1-line block ×4, first 2 shown]
	v_and_b32_e32 v92, 0xffff, v12
	s_and_saveexec_b32 s1, s0
	s_cbranch_execz .LBB0_11
; %bb.10:
	v_add_f64_e32 v[8:9], v[38:39], v[8:9]
	v_add_f64_e32 v[0:1], v[36:37], v[0:1]
	s_delay_alu instid0(VALU_DEP_2) | instskip(NEXT) | instid1(VALU_DEP_2)
	v_add_f64_e32 v[4:5], v[8:9], v[4:5]
	v_add_f64_e32 v[0:1], v[0:1], v[2:3]
	s_delay_alu instid0(VALU_DEP_2) | instskip(NEXT) | instid1(VALU_DEP_2)
	v_add_f64_e32 v[2:3], v[4:5], v[10:11]
	v_add_f64_e32 v[0:1], v[0:1], v[6:7]
	scratch_load_b128 v[5:8], off, off      ; 16-byte Folded Reload
	v_add_lshl_u32 v4, v204, v92, 4
	ds_store_b128 v4, v[104:107] offset:20944
	v_add_f64_e32 v[2:3], v[2:3], v[82:83]
	v_add_f64_e32 v[0:1], v[0:1], v[80:81]
	s_wait_loadcnt 0x0
	ds_store_b128 v4, v[5:8] offset:21216
	ds_store_b128 v4, v[0:3] offset:20400
	;; [unrolled: 1-line block ×4, first 2 shown]
.LBB0_11:
	s_wait_alu 0xfffe
	s_or_b32 exec_lo, exec_lo, s1
	v_mad_co_u64_u32 v[8:9], null, 0xf0, v223, s[2:3]
	global_wb scope:SCOPE_SE
	s_wait_storecnt_dscnt 0x0
	s_barrier_signal -1
	s_barrier_wait -1
	global_inv scope:SCOPE_SE
	s_mov_b32 s2, 0x667f3bcd
	s_mov_b32 s3, 0xbfe6a09e
	s_clause 0x3
	global_load_b128 v[32:35], v[8:9], off offset:1088
	global_load_b128 v[28:31], v[8:9], off offset:1104
	global_load_b128 v[24:27], v[8:9], off offset:1120
	global_load_b128 v[20:23], v[8:9], off offset:1136
	ds_load_b128 v[0:3], v228 offset:1360
	ds_load_b128 v[4:7], v228 offset:2720
	s_mov_b32 s11, 0x3fe6a09e
	s_wait_alu 0xfffe
	s_mov_b32 s10, s2
	s_mov_b32 s16, 0xa6aea964
	;; [unrolled: 1-line block ×4, first 2 shown]
	s_wait_alu 0xfffe
	s_mov_b32 s18, s16
	s_mov_b32 s14, 0xcf328d46
	;; [unrolled: 1-line block ×4, first 2 shown]
	s_wait_alu 0xfffe
	s_mov_b32 s20, s14
	global_load_b128 v[36:39], v[8:9], off offset:1200
	s_wait_loadcnt_dscnt 0x401
	v_mul_f64_e32 v[10:11], v[2:3], v[34:35]
	v_mul_f64_e32 v[12:13], v[0:1], v[34:35]
	s_wait_loadcnt_dscnt 0x300
	v_mul_f64_e32 v[14:15], v[6:7], v[30:31]
	v_mul_f64_e32 v[16:17], v[4:5], v[30:31]
	s_wait_loadcnt 0x2
	scratch_store_b128 off, v[24:27], off offset:112 ; 16-byte Folded Spill
	s_wait_loadcnt 0x1
	s_clause 0x2
	scratch_store_b128 off, v[20:23], off offset:96
	scratch_store_b128 off, v[32:35], off offset:144
	;; [unrolled: 1-line block ×3, first 2 shown]
	s_wait_loadcnt 0x0
	scratch_store_b128 off, v[36:39], off offset:212 ; 16-byte Folded Spill
	v_fma_f64 v[10:11], v[0:1], v[32:33], -v[10:11]
	v_fma_f64 v[12:13], v[2:3], v[32:33], v[12:13]
	ds_load_b128 v[0:3], v228 offset:4080
	v_fma_f64 v[4:5], v[4:5], v[28:29], -v[14:15]
	v_fma_f64 v[6:7], v[6:7], v[28:29], v[16:17]
	s_clause 0x1
	global_load_b128 v[28:31], v[8:9], off offset:1168
	global_load_b128 v[32:35], v[8:9], off offset:1184
	s_wait_dscnt 0x0
	v_mul_f64_e32 v[14:15], v[2:3], v[26:27]
	v_mul_f64_e32 v[16:17], v[0:1], v[26:27]
	s_delay_alu instid0(VALU_DEP_2) | instskip(NEXT) | instid1(VALU_DEP_2)
	v_fma_f64 v[14:15], v[0:1], v[24:25], -v[14:15]
	v_fma_f64 v[16:17], v[2:3], v[24:25], v[16:17]
	global_load_b128 v[24:27], v[8:9], off offset:1152
	ds_load_b128 v[0:3], v228 offset:5440
	s_wait_dscnt 0x0
	v_mul_f64_e32 v[18:19], v[2:3], v[22:23]
	s_delay_alu instid0(VALU_DEP_1) | instskip(SKIP_1) | instid1(VALU_DEP_1)
	v_fma_f64 v[18:19], v[0:1], v[20:21], -v[18:19]
	v_mul_f64_e32 v[0:1], v[0:1], v[22:23]
	v_fma_f64 v[20:21], v[2:3], v[20:21], v[0:1]
	ds_load_b128 v[0:3], v228 offset:6800
	s_wait_loadcnt 0x2
	scratch_store_b128 off, v[28:31], off offset:180 ; 16-byte Folded Spill
	s_wait_loadcnt 0x1
	scratch_store_b128 off, v[32:35], off offset:196 ; 16-byte Folded Spill
	s_wait_loadcnt_dscnt 0x0
	v_mul_f64_e32 v[22:23], v[2:3], v[26:27]
	scratch_store_b128 off, v[24:27], off offset:164 ; 16-byte Folded Spill
	v_fma_f64 v[22:23], v[0:1], v[24:25], -v[22:23]
	v_mul_f64_e32 v[0:1], v[0:1], v[26:27]
	s_delay_alu instid0(VALU_DEP_1) | instskip(SKIP_3) | instid1(VALU_DEP_1)
	v_fma_f64 v[24:25], v[2:3], v[24:25], v[0:1]
	ds_load_b128 v[0:3], v228 offset:8160
	s_wait_dscnt 0x0
	v_mul_f64_e32 v[26:27], v[2:3], v[30:31]
	v_fma_f64 v[26:27], v[0:1], v[28:29], -v[26:27]
	v_mul_f64_e32 v[0:1], v[0:1], v[30:31]
	s_delay_alu instid0(VALU_DEP_1) | instskip(SKIP_3) | instid1(VALU_DEP_1)
	v_fma_f64 v[28:29], v[2:3], v[28:29], v[0:1]
	ds_load_b128 v[0:3], v228 offset:9520
	s_wait_dscnt 0x0
	v_mul_f64_e32 v[30:31], v[2:3], v[34:35]
	;; [unrolled: 7-line block ×3, first 2 shown]
	v_fma_f64 v[34:35], v[0:1], v[36:37], -v[34:35]
	v_mul_f64_e32 v[0:1], v[0:1], v[38:39]
	s_delay_alu instid0(VALU_DEP_1)
	v_fma_f64 v[80:81], v[2:3], v[36:37], v[0:1]
	global_load_b128 v[36:39], v[8:9], off offset:1264
	ds_load_b128 v[0:3], v228 offset:16320
	s_wait_loadcnt_dscnt 0x0
	v_mul_f64_e32 v[82:83], v[2:3], v[38:39]
	scratch_store_b128 off, v[36:39], off offset:228 ; 16-byte Folded Spill
	v_fma_f64 v[82:83], v[0:1], v[36:37], -v[82:83]
	v_mul_f64_e32 v[0:1], v[0:1], v[38:39]
	s_delay_alu instid0(VALU_DEP_2) | instskip(NEXT) | instid1(VALU_DEP_2)
	v_add_f64_e64 v[82:83], v[18:19], -v[82:83]
	v_fma_f64 v[84:85], v[2:3], v[36:37], v[0:1]
	global_load_b128 v[36:39], v[8:9], off offset:1232
	ds_load_b128 v[0:3], v228 offset:13600
	v_fma_f64 v[18:19], v[18:19], 2.0, -v[82:83]
	v_add_f64_e64 v[84:85], v[20:21], -v[84:85]
	s_delay_alu instid0(VALU_DEP_1)
	v_fma_f64 v[20:21], v[20:21], 2.0, -v[84:85]
	s_wait_loadcnt_dscnt 0x0
	v_mul_f64_e32 v[86:87], v[2:3], v[38:39]
	scratch_store_b128 off, v[36:39], off offset:244 ; 16-byte Folded Spill
	v_fma_f64 v[86:87], v[0:1], v[36:37], -v[86:87]
	v_mul_f64_e32 v[0:1], v[0:1], v[38:39]
	s_delay_alu instid0(VALU_DEP_2) | instskip(NEXT) | instid1(VALU_DEP_2)
	v_add_f64_e64 v[86:87], v[4:5], -v[86:87]
	v_fma_f64 v[88:89], v[2:3], v[36:37], v[0:1]
	global_load_b128 v[36:39], v[8:9], off offset:1296
	ds_load_b128 v[0:3], v228 offset:19040
	v_fma_f64 v[4:5], v[4:5], 2.0, -v[86:87]
	v_add_f64_e64 v[88:89], v[6:7], -v[88:89]
	s_delay_alu instid0(VALU_DEP_1)
	v_fma_f64 v[6:7], v[6:7], 2.0, -v[88:89]
	s_wait_loadcnt_dscnt 0x0
	v_mul_f64_e32 v[90:91], v[2:3], v[38:39]
	scratch_store_b128 off, v[36:39], off offset:260 ; 16-byte Folded Spill
	v_fma_f64 v[90:91], v[0:1], v[36:37], -v[90:91]
	v_mul_f64_e32 v[0:1], v[0:1], v[38:39]
	s_delay_alu instid0(VALU_DEP_2) | instskip(NEXT) | instid1(VALU_DEP_2)
	v_add_f64_e64 v[90:91], v[26:27], -v[90:91]
	v_fma_f64 v[140:141], v[2:3], v[36:37], v[0:1]
	global_load_b128 v[36:39], v[8:9], off offset:1216
	ds_load_b128 v[0:3], v228 offset:12240
	v_fma_f64 v[26:27], v[26:27], 2.0, -v[90:91]
	v_add_f64_e64 v[140:141], v[28:29], -v[140:141]
	v_add_f64_e32 v[90:91], v[88:89], v[90:91]
	s_delay_alu instid0(VALU_DEP_3) | instskip(NEXT) | instid1(VALU_DEP_3)
	v_add_f64_e64 v[26:27], v[4:5], -v[26:27]
	v_fma_f64 v[28:29], v[28:29], 2.0, -v[140:141]
	v_add_f64_e64 v[140:141], v[86:87], -v[140:141]
	s_delay_alu instid0(VALU_DEP_3) | instskip(NEXT) | instid1(VALU_DEP_3)
	v_fma_f64 v[4:5], v[4:5], 2.0, -v[26:27]
	v_add_f64_e64 v[28:29], v[6:7], -v[28:29]
	s_delay_alu instid0(VALU_DEP_1)
	v_fma_f64 v[6:7], v[6:7], 2.0, -v[28:29]
	s_wait_loadcnt_dscnt 0x0
	v_mul_f64_e32 v[124:125], v[2:3], v[38:39]
	scratch_store_b128 off, v[36:39], off offset:276 ; 16-byte Folded Spill
	v_fma_f64 v[142:143], v[0:1], v[36:37], -v[124:125]
	global_load_b128 v[124:127], v[8:9], off offset:1280
	v_mul_f64_e32 v[0:1], v[0:1], v[38:39]
	v_add_f64_e64 v[142:143], v[10:11], -v[142:143]
	s_delay_alu instid0(VALU_DEP_2) | instskip(SKIP_3) | instid1(VALU_DEP_1)
	v_fma_f64 v[144:145], v[2:3], v[36:37], v[0:1]
	ds_load_b128 v[0:3], v228 offset:17680
	v_fma_f64 v[10:11], v[10:11], 2.0, -v[142:143]
	v_add_f64_e64 v[144:145], v[12:13], -v[144:145]
	v_fma_f64 v[12:13], v[12:13], 2.0, -v[144:145]
	s_wait_loadcnt_dscnt 0x0
	v_mul_f64_e32 v[128:129], v[2:3], v[126:127]
	s_delay_alu instid0(VALU_DEP_1) | instskip(SKIP_3) | instid1(VALU_DEP_2)
	v_fma_f64 v[146:147], v[0:1], v[124:125], -v[128:129]
	global_load_b128 v[128:131], v[8:9], off offset:1248
	v_mul_f64_e32 v[0:1], v[0:1], v[126:127]
	v_add_f64_e64 v[146:147], v[22:23], -v[146:147]
	v_fma_f64 v[148:149], v[2:3], v[124:125], v[0:1]
	ds_load_b128 v[0:3], v228 offset:14960
	v_fma_f64 v[22:23], v[22:23], 2.0, -v[146:147]
	v_add_f64_e32 v[146:147], v[144:145], v[146:147]
	v_add_f64_e64 v[148:149], v[24:25], -v[148:149]
	s_delay_alu instid0(VALU_DEP_3) | instskip(NEXT) | instid1(VALU_DEP_2)
	v_add_f64_e64 v[22:23], v[10:11], -v[22:23]
	v_fma_f64 v[24:25], v[24:25], 2.0, -v[148:149]
	v_add_f64_e64 v[148:149], v[142:143], -v[148:149]
	s_delay_alu instid0(VALU_DEP_2) | instskip(NEXT) | instid1(VALU_DEP_2)
	v_add_f64_e64 v[24:25], v[12:13], -v[24:25]
	v_fma_f64 v[142:143], v[142:143], 2.0, -v[148:149]
	s_wait_loadcnt_dscnt 0x0
	v_mul_f64_e32 v[132:133], v[2:3], v[130:131]
	s_delay_alu instid0(VALU_DEP_1) | instskip(SKIP_3) | instid1(VALU_DEP_2)
	v_fma_f64 v[150:151], v[0:1], v[128:129], -v[132:133]
	global_load_b128 v[132:135], v[8:9], off offset:1312
	v_mul_f64_e32 v[0:1], v[0:1], v[130:131]
	v_add_f64_e64 v[150:151], v[14:15], -v[150:151]
	v_fma_f64 v[152:153], v[2:3], v[128:129], v[0:1]
	ds_load_b128 v[0:3], v228 offset:20400
	v_fma_f64 v[14:15], v[14:15], 2.0, -v[150:151]
	v_add_f64_e64 v[160:161], v[16:17], -v[152:153]
	s_delay_alu instid0(VALU_DEP_1) | instskip(SKIP_2) | instid1(VALU_DEP_1)
	v_fma_f64 v[16:17], v[16:17], 2.0, -v[160:161]
	s_wait_loadcnt_dscnt 0x0
	v_mul_f64_e32 v[8:9], v[0:1], v[134:135]
	v_fma_f64 v[8:9], v[2:3], v[132:133], v[8:9]
	v_mul_f64_e32 v[2:3], v[2:3], v[134:135]
	s_delay_alu instid0(VALU_DEP_2) | instskip(NEXT) | instid1(VALU_DEP_2)
	v_add_f64_e64 v[8:9], v[32:33], -v[8:9]
	v_fma_f64 v[154:155], v[0:1], v[132:133], -v[2:3]
	ds_load_b128 v[0:3], v228
	s_wait_dscnt 0x0
	v_add_f64_e64 v[80:81], v[2:3], -v[80:81]
	v_add_f64_e64 v[34:35], v[0:1], -v[34:35]
	v_fma_f64 v[32:33], v[32:33], 2.0, -v[8:9]
	v_add_f64_e64 v[156:157], v[30:31], -v[154:155]
	v_add_f64_e64 v[8:9], v[150:151], -v[8:9]
	v_fma_f64 v[2:3], v[2:3], 2.0, -v[80:81]
	v_fma_f64 v[0:1], v[0:1], 2.0, -v[34:35]
	v_add_f64_e64 v[84:85], v[34:35], -v[84:85]
	v_add_f64_e32 v[82:83], v[80:81], v[82:83]
	v_add_f64_e64 v[32:33], v[16:17], -v[32:33]
	v_fma_f64 v[30:31], v[30:31], 2.0, -v[156:157]
	v_add_f64_e64 v[20:21], v[2:3], -v[20:21]
	v_add_f64_e64 v[18:19], v[0:1], -v[18:19]
	v_fma_f64 v[34:35], v[34:35], 2.0, -v[84:85]
	v_fma_f64 v[80:81], v[80:81], 2.0, -v[82:83]
	v_add_f64_e64 v[158:159], v[22:23], -v[32:33]
	v_add_f64_e64 v[30:31], v[14:15], -v[30:31]
	v_add_f64_e32 v[178:179], v[20:21], v[26:27]
	v_add_f64_e64 v[176:177], v[18:19], -v[28:29]
	v_fma_f64 v[0:1], v[0:1], 2.0, -v[18:19]
	v_fma_f64 v[2:3], v[2:3], 2.0, -v[20:21]
	v_add_f64_e32 v[162:163], v[24:25], v[30:31]
	v_fma_f64 v[182:183], v[20:21], 2.0, -v[178:179]
	v_fma_f64 v[152:153], v[158:159], s[10:11], v[176:177]
	v_fma_f64 v[180:181], v[18:19], 2.0, -v[176:177]
	v_add_f64_e64 v[4:5], v[0:1], -v[4:5]
	v_add_f64_e64 v[6:7], v[2:3], -v[6:7]
	v_fma_f64 v[154:155], v[162:163], s[10:11], v[178:179]
	v_fma_f64 v[152:153], v[162:163], s[2:3], v[152:153]
	v_fma_f64 v[162:163], v[24:25], 2.0, -v[162:163]
	v_fma_f64 v[0:1], v[0:1], 2.0, -v[4:5]
	v_fma_f64 v[2:3], v[2:3], 2.0, -v[6:7]
	v_fma_f64 v[154:155], v[158:159], s[10:11], v[154:155]
	v_fma_f64 v[158:159], v[22:23], 2.0, -v[158:159]
	v_fma_f64 v[192:193], v[176:177], 2.0, -v[152:153]
	v_fma_f64 v[166:167], v[162:163], s[2:3], v[182:183]
	s_delay_alu instid0(VALU_DEP_4) | instskip(NEXT) | instid1(VALU_DEP_4)
	v_fma_f64 v[194:195], v[178:179], 2.0, -v[154:155]
	v_fma_f64 v[164:165], v[158:159], s[2:3], v[180:181]
	s_delay_alu instid0(VALU_DEP_3) | instskip(NEXT) | instid1(VALU_DEP_2)
	v_fma_f64 v[166:167], v[158:159], s[10:11], v[166:167]
	v_fma_f64 v[164:165], v[162:163], s[2:3], v[164:165]
	v_add_f64_e32 v[162:163], v[160:161], v[156:157]
	v_fma_f64 v[156:157], v[140:141], s[10:11], v[84:85]
	s_delay_alu instid0(VALU_DEP_4) | instskip(NEXT) | instid1(VALU_DEP_4)
	v_fma_f64 v[182:183], v[182:183], 2.0, -v[166:167]
	v_fma_f64 v[180:181], v[180:181], 2.0, -v[164:165]
	s_delay_alu instid0(VALU_DEP_3) | instskip(SKIP_1) | instid1(VALU_DEP_2)
	v_fma_f64 v[184:185], v[90:91], s[2:3], v[156:157]
	v_fma_f64 v[156:157], v[90:91], s[10:11], v[82:83]
	v_fma_f64 v[200:201], v[84:85], 2.0, -v[184:185]
	s_delay_alu instid0(VALU_DEP_2) | instskip(SKIP_3) | instid1(VALU_DEP_4)
	v_fma_f64 v[186:187], v[140:141], s[10:11], v[156:157]
	v_fma_f64 v[156:157], v[8:9], s[10:11], v[148:149]
	v_fma_f64 v[84:85], v[88:89], 2.0, -v[90:91]
	v_fma_f64 v[88:89], v[160:161], 2.0, -v[162:163]
	;; [unrolled: 1-line block ×3, first 2 shown]
	s_delay_alu instid0(VALU_DEP_4) | instskip(SKIP_3) | instid1(VALU_DEP_4)
	v_fma_f64 v[168:169], v[162:163], s[2:3], v[156:157]
	v_fma_f64 v[156:157], v[162:163], s[10:11], v[146:147]
	v_fma_f64 v[82:83], v[86:87], 2.0, -v[140:141]
	v_fma_f64 v[86:87], v[144:145], 2.0, -v[146:147]
	;; [unrolled: 1-line block ×3, first 2 shown]
	s_delay_alu instid0(VALU_DEP_4) | instskip(SKIP_3) | instid1(VALU_DEP_3)
	v_fma_f64 v[170:171], v[8:9], s[10:11], v[156:157]
	v_fma_f64 v[8:9], v[150:151], 2.0, -v[8:9]
	s_wait_alu 0xfffe
	v_fma_f64 v[156:157], v[168:169], s[20:21], v[184:185]
	v_fma_f64 v[158:159], v[170:171], s[20:21], v[186:187]
	s_delay_alu instid0(VALU_DEP_3) | instskip(NEXT) | instid1(VALU_DEP_3)
	v_fma_f64 v[90:91], v[8:9], s[2:3], v[142:143]
	v_fma_f64 v[156:157], v[170:171], s[16:17], v[156:157]
	s_delay_alu instid0(VALU_DEP_3) | instskip(NEXT) | instid1(VALU_DEP_3)
	v_fma_f64 v[158:159], v[168:169], s[18:19], v[158:159]
	v_fma_f64 v[90:91], v[88:89], s[2:3], v[90:91]
	;; [unrolled: 1-line block ×3, first 2 shown]
	v_fma_f64 v[168:169], v[146:147], 2.0, -v[170:171]
	v_fma_f64 v[170:171], v[172:173], s[16:17], v[200:201]
	v_fma_f64 v[204:205], v[184:185], 2.0, -v[156:157]
	v_fma_f64 v[206:207], v[186:187], 2.0, -v[158:159]
	v_fma_f64 v[8:9], v[8:9], s[10:11], v[88:89]
	v_fma_f64 v[88:89], v[84:85], s[2:3], v[80:81]
	;; [unrolled: 1-line block ×4, first 2 shown]
	s_delay_alu instid0(VALU_DEP_3) | instskip(SKIP_1) | instid1(VALU_DEP_4)
	v_fma_f64 v[88:89], v[82:83], s[10:11], v[88:89]
	v_fma_f64 v[82:83], v[82:83], s[2:3], v[34:35]
	v_fma_f64 v[170:171], v[172:173], s[20:21], v[174:175]
	s_delay_alu instid0(VALU_DEP_4) | instskip(NEXT) | instid1(VALU_DEP_4)
	v_fma_f64 v[184:185], v[200:201], 2.0, -v[168:169]
	v_fma_f64 v[140:141], v[8:9], s[18:19], v[88:89]
	s_delay_alu instid0(VALU_DEP_4)
	v_fma_f64 v[82:83], v[84:85], s[2:3], v[82:83]
	v_fma_f64 v[84:85], v[142:143], 2.0, -v[90:91]
	v_fma_f64 v[80:81], v[80:81], 2.0, -v[88:89]
	;; [unrolled: 1-line block ×3, first 2 shown]
	v_fma_f64 v[162:163], v[90:91], s[20:21], v[140:141]
	v_fma_f64 v[142:143], v[90:91], s[18:19], v[82:83]
	v_fma_f64 v[34:35], v[34:35], 2.0, -v[82:83]
	s_delay_alu instid0(VALU_DEP_3) | instskip(NEXT) | instid1(VALU_DEP_3)
	v_fma_f64 v[202:203], v[88:89], 2.0, -v[162:163]
	v_fma_f64 v[160:161], v[8:9], s[14:15], v[142:143]
	v_fma_f64 v[8:9], v[86:87], 2.0, -v[8:9]
	s_delay_alu instid0(VALU_DEP_4) | instskip(NEXT) | instid1(VALU_DEP_3)
	v_fma_f64 v[86:87], v[84:85], s[14:15], v[34:35]
	v_fma_f64 v[200:201], v[82:83], 2.0, -v[160:161]
	s_delay_alu instid0(VALU_DEP_3) | instskip(NEXT) | instid1(VALU_DEP_3)
	v_fma_f64 v[90:91], v[8:9], s[14:15], v[80:81]
	v_fma_f64 v[196:197], v[8:9], s[16:17], v[86:87]
	v_fma_f64 v[8:9], v[10:11], 2.0, -v[22:23]
	v_fma_f64 v[10:11], v[12:13], 2.0, -v[24:25]
	;; [unrolled: 1-line block ×4, first 2 shown]
	v_fma_f64 v[198:199], v[84:85], s[18:19], v[90:91]
	v_fma_f64 v[176:177], v[34:35], 2.0, -v[196:197]
	s_delay_alu instid0(VALU_DEP_4) | instskip(NEXT) | instid1(VALU_DEP_4)
	v_add_f64_e64 v[12:13], v[8:9], -v[12:13]
	v_add_f64_e64 v[14:15], v[10:11], -v[14:15]
	s_delay_alu instid0(VALU_DEP_4) | instskip(NEXT) | instid1(VALU_DEP_3)
	v_fma_f64 v[178:179], v[80:81], 2.0, -v[198:199]
	v_fma_f64 v[8:9], v[8:9], 2.0, -v[12:13]
	s_delay_alu instid0(VALU_DEP_3)
	v_fma_f64 v[10:11], v[10:11], 2.0, -v[14:15]
	v_add_f64_e64 v[172:173], v[4:5], -v[14:15]
	v_add_f64_e32 v[174:175], v[6:7], v[12:13]
	v_lshl_add_u32 v12, v223, 4, v229
	v_add_f64_e64 v[208:209], v[0:1], -v[8:9]
	v_add_f64_e64 v[210:211], v[2:3], -v[10:11]
	v_fma_f64 v[188:189], v[4:5], 2.0, -v[172:173]
	v_fma_f64 v[190:191], v[6:7], 2.0, -v[174:175]
	s_delay_alu instid0(VALU_DEP_4) | instskip(NEXT) | instid1(VALU_DEP_4)
	v_fma_f64 v[148:149], v[0:1], 2.0, -v[208:209]
	v_fma_f64 v[150:151], v[2:3], 2.0, -v[210:211]
	ds_store_b128 v12, v[152:155] offset:19040
	ds_store_b128 v12, v[156:159] offset:20400
	;; [unrolled: 1-line block ×14, first 2 shown]
	ds_store_b128 v12, v[148:151]
	ds_store_b128 v12, v[176:179] offset:1360
	global_wb scope:SCOPE_SE
	s_wait_storecnt_dscnt 0x0
	s_barrier_signal -1
	s_barrier_wait -1
	global_inv scope:SCOPE_SE
	s_and_saveexec_b32 s1, vcc_lo
	s_cbranch_execz .LBB0_13
; %bb.12:
	global_load_b128 v[0:3], v255, s[8:9] offset:21760
	s_add_nc_u64 s[2:3], s[8:9], 0x5500
	s_clause 0x3
	global_load_b128 v[4:7], v255, s[2:3] offset:1280
	global_load_b128 v[8:11], v255, s[2:3] offset:2560
	;; [unrolled: 1-line block ×4, first 2 shown]
	v_dual_mov_b32 v15, v229 :: v_dual_mov_b32 v34, v223
	global_load_b128 v[229:232], v255, s[2:3] offset:6400
	ds_load_b128 v[88:91], v12
	ds_load_b128 v[233:236], v12 offset:12800
	v_mov_b32_e32 v35, v252
	v_mov_b32_e32 v33, v222
	ds_load_b128 v[17:20], v12 offset:17920
	ds_load_b128 v[23:26], v12 offset:19200
	ds_load_b128 v[29:32], v12 offset:20480
	ds_load_b128 v[239:242], v12 offset:14080
	ds_load_b128 v[245:248], v12 offset:15360
	ds_load_b128 v[251:254], v12 offset:16640
	s_wait_loadcnt_dscnt 0x507
	v_mul_f64_e32 v[13:14], v[90:91], v[2:3]
	v_mul_f64_e32 v[2:3], v[88:89], v[2:3]
	s_delay_alu instid0(VALU_DEP_2) | instskip(NEXT) | instid1(VALU_DEP_2)
	v_fma_f64 v[140:141], v[88:89], v[0:1], -v[13:14]
	v_fma_f64 v[142:143], v[90:91], v[0:1], v[2:3]
	ds_load_b128 v[0:3], v12 offset:1280
	s_wait_loadcnt_dscnt 0x400
	v_mul_f64_e32 v[13:14], v[2:3], v[6:7]
	v_mul_f64_e32 v[6:7], v[0:1], v[6:7]
	s_delay_alu instid0(VALU_DEP_2) | instskip(NEXT) | instid1(VALU_DEP_2)
	v_fma_f64 v[144:145], v[0:1], v[4:5], -v[13:14]
	v_fma_f64 v[146:147], v[2:3], v[4:5], v[6:7]
	ds_load_b128 v[0:3], v12 offset:2560
	;; [unrolled: 7-line block ×4, first 2 shown]
	ds_load_b128 v[80:83], v12 offset:8960
	s_wait_loadcnt_dscnt 0x101
	v_mul_f64_e32 v[4:5], v[2:3], v[86:87]
	v_mul_f64_e32 v[6:7], v[0:1], v[86:87]
	s_delay_alu instid0(VALU_DEP_2) | instskip(NEXT) | instid1(VALU_DEP_2)
	v_fma_f64 v[220:221], v[0:1], v[84:85], -v[4:5]
	v_fma_f64 v[222:223], v[2:3], v[84:85], v[6:7]
	ds_load_b128 v[0:3], v12 offset:6400
	ds_load_b128 v[84:87], v12 offset:10240
	s_wait_loadcnt_dscnt 0x1
	v_mul_f64_e32 v[4:5], v[2:3], v[231:232]
	v_mul_f64_e32 v[6:7], v[0:1], v[231:232]
	s_delay_alu instid0(VALU_DEP_2) | instskip(NEXT) | instid1(VALU_DEP_2)
	v_fma_f64 v[224:225], v[0:1], v[229:230], -v[4:5]
	v_fma_f64 v[226:227], v[2:3], v[229:230], v[6:7]
	global_load_b128 v[0:3], v255, s[2:3] offset:7680
	ds_load_b128 v[4:7], v12 offset:7680
	ds_load_b128 v[229:232], v12 offset:11520
	s_wait_loadcnt_dscnt 0x1
	v_mul_f64_e32 v[8:9], v[6:7], v[2:3]
	v_mul_f64_e32 v[10:11], v[4:5], v[2:3]
	s_delay_alu instid0(VALU_DEP_2) | instskip(NEXT) | instid1(VALU_DEP_2)
	v_fma_f64 v[2:3], v[4:5], v[0:1], -v[8:9]
	v_fma_f64 v[4:5], v[6:7], v[0:1], v[10:11]
	global_load_b128 v[6:9], v255, s[2:3] offset:8960
	s_wait_loadcnt 0x0
	v_mul_f64_e32 v[0:1], v[82:83], v[8:9]
	v_mul_f64_e32 v[10:11], v[80:81], v[8:9]
	s_delay_alu instid0(VALU_DEP_2) | instskip(NEXT) | instid1(VALU_DEP_2)
	v_fma_f64 v[8:9], v[80:81], v[6:7], -v[0:1]
	v_fma_f64 v[10:11], v[82:83], v[6:7], v[10:11]
	global_load_b128 v[80:83], v255, s[2:3] offset:10240
	s_wait_loadcnt 0x0
	v_mul_f64_e32 v[0:1], v[86:87], v[82:83]
	v_mul_f64_e32 v[6:7], v[84:85], v[82:83]
	s_delay_alu instid0(VALU_DEP_2) | instskip(NEXT) | instid1(VALU_DEP_2)
	v_fma_f64 v[82:83], v[84:85], v[80:81], -v[0:1]
	v_fma_f64 v[84:85], v[86:87], v[80:81], v[6:7]
	global_load_b128 v[86:89], v255, s[2:3] offset:11520
	s_wait_loadcnt_dscnt 0x0
	v_mul_f64_e32 v[0:1], v[231:232], v[88:89]
	v_mul_f64_e32 v[6:7], v[229:230], v[88:89]
	s_delay_alu instid0(VALU_DEP_2) | instskip(NEXT) | instid1(VALU_DEP_2)
	v_fma_f64 v[88:89], v[229:230], v[86:87], -v[0:1]
	v_fma_f64 v[90:91], v[231:232], v[86:87], v[6:7]
	global_load_b128 v[229:232], v255, s[2:3] offset:12800
	s_wait_loadcnt 0x0
	v_mul_f64_e32 v[0:1], v[235:236], v[231:232]
	v_mul_f64_e32 v[6:7], v[233:234], v[231:232]
	s_delay_alu instid0(VALU_DEP_2) | instskip(NEXT) | instid1(VALU_DEP_2)
	v_fma_f64 v[231:232], v[233:234], v[229:230], -v[0:1]
	v_fma_f64 v[233:234], v[235:236], v[229:230], v[6:7]
	global_load_b128 v[235:238], v255, s[2:3] offset:14080
	v_mov_b32_e32 v229, v15
	global_load_b128 v[13:16], v255, s[2:3] offset:17920
	s_wait_loadcnt 0x1
	v_mul_f64_e32 v[0:1], v[241:242], v[237:238]
	v_mul_f64_e32 v[6:7], v[239:240], v[237:238]
	s_delay_alu instid0(VALU_DEP_2) | instskip(NEXT) | instid1(VALU_DEP_2)
	v_fma_f64 v[237:238], v[239:240], v[235:236], -v[0:1]
	v_fma_f64 v[239:240], v[241:242], v[235:236], v[6:7]
	global_load_b128 v[241:244], v255, s[2:3] offset:15360
	s_wait_loadcnt 0x0
	v_mul_f64_e32 v[0:1], v[247:248], v[243:244]
	v_mul_f64_e32 v[6:7], v[245:246], v[243:244]
	s_delay_alu instid0(VALU_DEP_2) | instskip(NEXT) | instid1(VALU_DEP_2)
	v_fma_f64 v[243:244], v[245:246], v[241:242], -v[0:1]
	v_fma_f64 v[245:246], v[247:248], v[241:242], v[6:7]
	;; [unrolled: 7-line block ×3, first 2 shown]
	v_mul_f64_e32 v[0:1], v[19:20], v[15:16]
	v_mul_f64_e32 v[6:7], v[17:18], v[15:16]
	s_delay_alu instid0(VALU_DEP_2) | instskip(NEXT) | instid1(VALU_DEP_2)
	v_fma_f64 v[15:16], v[17:18], v[13:14], -v[0:1]
	v_fma_f64 v[17:18], v[19:20], v[13:14], v[6:7]
	global_load_b128 v[19:22], v255, s[2:3] offset:19200
	s_wait_loadcnt 0x0
	v_mul_f64_e32 v[0:1], v[25:26], v[21:22]
	v_mul_f64_e32 v[6:7], v[23:24], v[21:22]
	s_delay_alu instid0(VALU_DEP_2) | instskip(NEXT) | instid1(VALU_DEP_2)
	v_fma_f64 v[21:22], v[23:24], v[19:20], -v[0:1]
	v_fma_f64 v[23:24], v[25:26], v[19:20], v[6:7]
	global_load_b128 v[25:28], v255, s[2:3] offset:20480
	ds_store_b128 v12, v[140:143]
	ds_store_b128 v12, v[144:147] offset:1280
	ds_store_b128 v12, v[212:215] offset:2560
	;; [unrolled: 1-line block ×4, first 2 shown]
	v_mov_b32_e32 v223, v34
	ds_store_b128 v12, v[224:227] offset:6400
	ds_store_b128 v12, v[2:5] offset:7680
	;; [unrolled: 1-line block ×9, first 2 shown]
	v_mov_b32_e32 v252, v35
	v_mov_b32_e32 v222, v33
	s_wait_loadcnt 0x0
	v_mul_f64_e32 v[0:1], v[31:32], v[27:28]
	v_mul_f64_e32 v[6:7], v[29:30], v[27:28]
	s_delay_alu instid0(VALU_DEP_2) | instskip(NEXT) | instid1(VALU_DEP_2)
	v_fma_f64 v[27:28], v[29:30], v[25:26], -v[0:1]
	v_fma_f64 v[29:30], v[31:32], v[25:26], v[6:7]
	ds_store_b128 v12, v[15:18] offset:17920
	ds_store_b128 v12, v[21:24] offset:19200
	;; [unrolled: 1-line block ×3, first 2 shown]
.LBB0_13:
	s_wait_alu 0xfffe
	s_or_b32 exec_lo, exec_lo, s1
	global_wb scope:SCOPE_SE
	s_wait_dscnt 0x0
	s_barrier_signal -1
	s_barrier_wait -1
	global_inv scope:SCOPE_SE
	s_and_saveexec_b32 s1, vcc_lo
	s_cbranch_execz .LBB0_15
; %bb.14:
	ds_load_b128 v[148:151], v12
	ds_load_b128 v[176:179], v12 offset:1280
	ds_load_b128 v[180:183], v12 offset:2560
	;; [unrolled: 1-line block ×16, first 2 shown]
.LBB0_15:
	s_wait_alu 0xfffe
	s_or_b32 exec_lo, exec_lo, s1
	s_wait_dscnt 0x0
	v_add_f64_e64 v[4:5], v[178:179], -v[138:139]
	s_mov_b32 s14, 0x5d8e7cdc
	s_mov_b32 s15, 0xbfd71e95
	v_add_f64_e32 v[2:3], v[136:137], v[176:177]
	v_add_f64_e64 v[35:36], v[182:183], -v[158:159]
	s_mov_b32 s2, 0x370991
	s_mov_b32 s16, 0x2a9d6da3
	s_mov_b32 s3, 0x3fedd6d0
	s_mov_b32 s17, 0xbfe58eea
	v_add_f64_e32 v[212:213], v[156:157], v[180:181]
	s_mov_b32 s10, 0x75d4884
	s_mov_b32 s11, 0x3fe7a5f6
	v_add_f64_e32 v[8:9], v[138:139], v[178:179]
	v_add_f64_e32 v[214:215], v[158:159], v[182:183]
	v_add_f64_e64 v[231:232], v[180:181], -v[156:157]
	v_add_f64_e64 v[37:38], v[186:187], -v[154:155]
	s_mov_b32 s24, 0x7c9e640b
	s_mov_b32 s25, 0xbfeca52d
	v_add_f64_e32 v[216:217], v[152:153], v[184:185]
	v_add_f64_e32 v[218:219], v[154:155], v[186:187]
	s_mov_b32 s18, 0x2b2883cd
	s_mov_b32 s19, 0x3fdc86fa
	v_add_f64_e64 v[243:244], v[184:185], -v[152:153]
	v_add_f64_e64 v[44:45], v[190:191], -v[162:163]
	s_mov_b32 s34, 0xeb564b22
	s_mov_b32 s35, 0xbfefdd0d
	v_add_f64_e32 v[220:221], v[160:161], v[188:189]
	v_add_f64_e32 v[224:225], v[162:163], v[190:191]
	s_mov_b32 s20, 0x3259b75e
	s_mov_b32 s21, 0x3fb79ee6
	;; [unrolled: 8-line block ×3, first 2 shown]
	s_wait_alu 0xfffe
	v_mul_f64_e32 v[62:63], s[14:15], v[4:5]
	v_add_f64_e64 v[82:83], v[200:201], -v[172:173]
	v_add_f64_e64 v[122:123], v[194:195], -v[170:171]
	s_mov_b32 s36, 0x6c9a05f6
	v_mul_f64_e32 v[52:53], s[16:17], v[35:36]
	s_mov_b32 s37, 0xbfe9895b
	v_add_f64_e32 v[235:236], v[192:193], v[168:169]
	v_add_f64_e32 v[237:238], v[194:195], v[170:171]
	s_mov_b32 s26, 0x6ed5f1bb
	s_mov_b32 s27, 0xbfe348c8
	v_add_f64_e64 v[84:85], v[192:193], -v[168:169]
	v_add_f64_e64 v[90:91], v[206:207], -v[166:167]
	v_mul_f64_e32 v[25:26], s[2:3], v[8:9]
	v_mul_f64_e32 v[54:55], s[10:11], v[214:215]
	s_mov_b32 s40, 0x4363dd80
	v_mul_f64_e32 v[60:61], s[24:25], v[37:38]
	s_mov_b32 s41, 0x3fe0d888
	s_mov_b32 s39, 0xbfe0d888
	s_wait_alu 0xfffe
	s_mov_b32 s38, s40
	v_mul_f64_e32 v[80:81], s[18:19], v[218:219]
	v_add_f64_e32 v[239:240], v[164:165], v[204:205]
	s_mov_b32 s28, 0x910ea3b9
	s_mov_b32 s29, 0xbfeb34fa
	v_mul_f64_e32 v[93:94], s[34:35], v[44:45]
	v_add_f64_e32 v[245:246], v[166:167], v[206:207]
	v_add_f64_e64 v[86:87], v[210:211], -v[198:199]
	s_mov_b32 s49, 0xbfc7851a
	v_mul_f64_e32 v[97:98], s[20:21], v[224:225]
	s_mov_b32 s48, 0xacd6c6b4
	v_add_f64_e32 v[247:248], v[196:197], v[208:209]
	v_add_f64_e32 v[249:250], v[198:199], v[210:211]
	v_mul_f64_e32 v[95:96], s[46:47], v[46:47]
	s_mov_b32 s30, 0x7faef3
	s_mov_b32 s31, 0xbfef7484
	v_add_f64_e64 v[88:89], v[208:209], -v[196:197]
	v_mul_f64_e32 v[111:112], s[22:23], v[233:234]
	v_mul_f64_e32 v[117:118], s[34:35], v[35:36]
	v_mul_f64_e32 v[21:22], s[20:21], v[214:215]
	v_fma_f64 v[0:1], v[2:3], s[2:3], -v[62:63]
	v_mul_f64_e32 v[19:20], s[36:37], v[37:38]
	v_mul_f64_e32 v[109:110], s[36:37], v[122:123]
	s_wait_alu 0xfffe
	v_mul_f64_e32 v[29:30], s[48:49], v[44:45]
	v_fma_f64 v[6:7], v[212:213], s[10:11], -v[52:53]
	v_mul_f64_e32 v[27:28], s[40:41], v[46:47]
	s_mov_b32 s45, 0x3feec746
	v_mul_f64_e32 v[115:116], s[26:27], v[237:238]
	s_mov_b32 s44, s46
	s_mov_b32 s43, 0x3feca52d
	s_wait_alu 0xfffe
	v_mul_f64_e32 v[31:32], s[44:45], v[122:123]
	v_mul_f64_e32 v[113:114], s[38:39], v[90:91]
	s_mov_b32 s42, s24
	v_fma_f64 v[13:14], v[231:232], s[16:17], v[54:55]
	s_wait_alu 0xfffe
	v_mul_f64_e32 v[33:34], s[42:43], v[90:91]
	s_mov_b32 s51, 0x3fd71e95
	s_mov_b32 s50, s14
	v_mul_f64_e32 v[241:242], s[28:29], v[245:246]
	v_mul_f64_e32 v[119:120], s[48:49], v[86:87]
	v_mul_f64_e32 v[23:24], s[30:31], v[249:250]
	v_fma_f64 v[17:18], v[231:232], s[34:35], v[21:22]
	v_add_f64_e32 v[0:1], v[148:149], v[0:1]
	s_delay_alu instid0(VALU_DEP_1) | instskip(SKIP_1) | instid1(VALU_DEP_1)
	v_add_f64_e32 v[0:1], v[6:7], v[0:1]
	v_add_f64_e64 v[6:7], v[176:177], -v[136:137]
	v_fma_f64 v[10:11], v[6:7], s[14:15], v[25:26]
	s_delay_alu instid0(VALU_DEP_1) | instskip(NEXT) | instid1(VALU_DEP_1)
	v_add_f64_e32 v[10:11], v[150:151], v[10:11]
	v_add_f64_e32 v[10:11], v[13:14], v[10:11]
	v_fma_f64 v[13:14], v[216:217], s[18:19], -v[60:61]
	s_delay_alu instid0(VALU_DEP_1) | instskip(SKIP_1) | instid1(VALU_DEP_1)
	v_add_f64_e32 v[0:1], v[13:14], v[0:1]
	v_fma_f64 v[13:14], v[243:244], s[24:25], v[80:81]
	v_add_f64_e32 v[10:11], v[13:14], v[10:11]
	v_fma_f64 v[13:14], v[220:221], s[20:21], -v[93:94]
	s_delay_alu instid0(VALU_DEP_1) | instskip(SKIP_1) | instid1(VALU_DEP_1)
	v_add_f64_e32 v[0:1], v[13:14], v[0:1]
	v_fma_f64 v[13:14], v[253:254], s[34:35], v[97:98]
	;; [unrolled: 5-line block ×4, first 2 shown]
	v_add_f64_e32 v[10:11], v[13:14], v[10:11]
	v_fma_f64 v[13:14], v[239:240], s[28:29], -v[113:114]
	s_delay_alu instid0(VALU_DEP_1) | instskip(SKIP_1) | instid1(VALU_DEP_1)
	v_add_f64_e32 v[13:14], v[13:14], v[0:1]
	v_add_f64_e64 v[0:1], v[204:205], -v[164:165]
	v_fma_f64 v[15:16], v[0:1], s[38:39], v[241:242]
	s_delay_alu instid0(VALU_DEP_1) | instskip(SKIP_1) | instid1(VALU_DEP_1)
	v_add_f64_e32 v[10:11], v[15:16], v[10:11]
	v_fma_f64 v[15:16], v[247:248], s[30:31], -v[119:120]
	v_add_f64_e32 v[144:145], v[15:16], v[13:14]
	v_fma_f64 v[13:14], v[88:89], s[48:49], v[23:24]
	s_delay_alu instid0(VALU_DEP_1) | instskip(SKIP_4) | instid1(VALU_DEP_1)
	v_add_f64_e32 v[146:147], v[13:14], v[10:11]
	v_mul_f64_e32 v[10:11], s[16:17], v[4:5]
	v_fma_f64 v[13:14], v[212:213], s[20:21], -v[117:118]
	scratch_store_b64 off, v[10:11], off offset:412 ; 8-byte Folded Spill
	v_fma_f64 v[10:11], v[2:3], s[10:11], -v[10:11]
	v_add_f64_e32 v[10:11], v[148:149], v[10:11]
	s_delay_alu instid0(VALU_DEP_1) | instskip(SKIP_1) | instid1(VALU_DEP_1)
	v_add_f64_e32 v[13:14], v[13:14], v[10:11]
	v_mul_f64_e32 v[10:11], s[10:11], v[8:9]
	v_fma_f64 v[15:16], v[6:7], s[16:17], v[10:11]
	s_delay_alu instid0(VALU_DEP_1) | instskip(NEXT) | instid1(VALU_DEP_1)
	v_add_f64_e32 v[15:16], v[150:151], v[15:16]
	v_add_f64_e32 v[15:16], v[17:18], v[15:16]
	v_fma_f64 v[17:18], v[216:217], s[26:27], -v[19:20]
	s_delay_alu instid0(VALU_DEP_1) | instskip(SKIP_3) | instid1(VALU_DEP_1)
	v_add_f64_e32 v[13:14], v[17:18], v[13:14]
	v_mul_f64_e32 v[17:18], s[26:27], v[218:219]
	scratch_store_b64 off, v[17:18], off offset:372 ; 8-byte Folded Spill
	v_fma_f64 v[17:18], v[243:244], s[36:37], v[17:18]
	v_add_f64_e32 v[15:16], v[17:18], v[15:16]
	v_fma_f64 v[17:18], v[220:221], s[30:31], -v[29:30]
	s_delay_alu instid0(VALU_DEP_1) | instskip(SKIP_3) | instid1(VALU_DEP_1)
	v_add_f64_e32 v[13:14], v[17:18], v[13:14]
	v_mul_f64_e32 v[17:18], s[30:31], v[224:225]
	scratch_store_b64 off, v[17:18], off offset:404 ; 8-byte Folded Spill
	v_fma_f64 v[17:18], v[253:254], s[48:49], v[17:18]
	v_add_f64_e32 v[15:16], v[17:18], v[15:16]
	v_fma_f64 v[17:18], v[226:227], s[28:29], -v[27:28]
	s_delay_alu instid0(VALU_DEP_1) | instskip(SKIP_3) | instid1(VALU_DEP_1)
	v_add_f64_e32 v[13:14], v[17:18], v[13:14]
	v_mul_f64_e32 v[17:18], s[28:29], v[233:234]
	scratch_store_b64 off, v[17:18], off offset:380 ; 8-byte Folded Spill
	v_fma_f64 v[17:18], v[82:83], s[40:41], v[17:18]
	v_add_f64_e32 v[15:16], v[17:18], v[15:16]
	v_fma_f64 v[17:18], v[235:236], s[22:23], -v[31:32]
	s_delay_alu instid0(VALU_DEP_1) | instskip(SKIP_3) | instid1(VALU_DEP_1)
	v_add_f64_e32 v[13:14], v[17:18], v[13:14]
	v_mul_f64_e32 v[17:18], s[22:23], v[237:238]
	scratch_store_b64 off, v[17:18], off offset:388 ; 8-byte Folded Spill
	v_fma_f64 v[17:18], v[84:85], s[44:45], v[17:18]
	v_add_f64_e32 v[15:16], v[17:18], v[15:16]
	v_fma_f64 v[17:18], v[239:240], s[18:19], -v[33:34]
	s_delay_alu instid0(VALU_DEP_1) | instskip(SKIP_3) | instid1(VALU_DEP_1)
	v_add_f64_e32 v[13:14], v[17:18], v[13:14]
	v_mul_f64_e32 v[17:18], s[18:19], v[245:246]
	scratch_store_b64 off, v[17:18], off offset:396 ; 8-byte Folded Spill
	v_fma_f64 v[17:18], v[0:1], s[42:43], v[17:18]
	v_add_f64_e32 v[15:16], v[17:18], v[15:16]
	s_wait_alu 0xfffe
	v_mul_f64_e32 v[17:18], s[50:51], v[86:87]
	scratch_store_b64 off, v[17:18], off offset:364 ; 8-byte Folded Spill
	v_fma_f64 v[17:18], v[247:248], s[2:3], -v[17:18]
	global_wb scope:SCOPE_SE
	s_wait_storecnt 0x0
	s_barrier_signal -1
	s_barrier_wait -1
	global_inv scope:SCOPE_SE
	v_add_f64_e32 v[140:141], v[17:18], v[13:14]
	v_mul_f64_e32 v[17:18], s[2:3], v[249:250]
	s_delay_alu instid0(VALU_DEP_1) | instskip(NEXT) | instid1(VALU_DEP_1)
	v_fma_f64 v[13:14], v[88:89], s[50:51], v[17:18]
	v_add_f64_e32 v[142:143], v[13:14], v[15:16]
	s_and_saveexec_b32 s1, vcc_lo
	s_cbranch_execz .LBB0_17
; %bb.16:
	v_add_f64_e32 v[15:16], v[148:149], v[176:177]
	v_add_f64_e32 v[13:14], v[150:151], v[178:179]
	v_dual_mov_b32 v177, v20 :: v_dual_mov_b32 v176, v19
	s_mov_b32 s55, 0x3fe58eea
	s_mov_b32 s54, s16
	;; [unrolled: 1-line block ×6, first 2 shown]
	v_mov_b32_e32 v251, v255
	v_mov_b32_e32 v255, v108
	v_add_f64_e32 v[15:16], v[180:181], v[15:16]
	v_add_f64_e32 v[13:14], v[182:183], v[13:14]
	v_dual_mov_b32 v181, v22 :: v_dual_mov_b32 v180, v21
	v_mul_f64_e32 v[21:22], s[36:37], v[6:7]
	s_delay_alu instid0(VALU_DEP_4) | instskip(NEXT) | instid1(VALU_DEP_4)
	v_add_f64_e32 v[15:16], v[184:185], v[15:16]
	v_add_f64_e32 v[13:14], v[186:187], v[13:14]
	v_dual_mov_b32 v185, v24 :: v_dual_mov_b32 v184, v23
	s_delay_alu instid0(VALU_DEP_4)
	v_fma_f64 v[23:24], v[8:9], s[26:27], v[21:22]
	v_fma_f64 v[21:22], v[8:9], s[26:27], -v[21:22]
	s_wait_alu 0xfffe
	v_mul_f64_e32 v[186:187], s[54:55], v[44:45]
	v_add_f64_e32 v[15:16], v[188:189], v[15:16]
	v_add_f64_e32 v[13:14], v[190:191], v[13:14]
	v_mul_f64_e32 v[188:189], s[36:37], v[82:83]
	v_mul_f64_e32 v[190:191], s[36:37], v[46:47]
	v_add_f64_e32 v[23:24], v[150:151], v[23:24]
	v_add_f64_e32 v[178:179], v[150:151], v[21:22]
	v_add_f64_e32 v[15:16], v[200:201], v[15:16]
	v_add_f64_e32 v[13:14], v[202:203], v[13:14]
	v_dual_mov_b32 v203, v28 :: v_dual_mov_b32 v202, v27
	v_mul_f64_e32 v[200:201], s[52:53], v[88:89]
	s_delay_alu instid0(VALU_DEP_4) | instskip(NEXT) | instid1(VALU_DEP_4)
	v_add_f64_e32 v[15:16], v[192:193], v[15:16]
	v_add_f64_e32 v[13:14], v[194:195], v[13:14]
	v_mul_f64_e32 v[192:193], s[42:43], v[84:85]
	v_mul_f64_e32 v[194:195], s[42:43], v[122:123]
	s_delay_alu instid0(VALU_DEP_4) | instskip(NEXT) | instid1(VALU_DEP_4)
	v_add_f64_e32 v[15:16], v[204:205], v[15:16]
	v_add_f64_e32 v[13:14], v[206:207], v[13:14]
	v_dual_mov_b32 v205, v30 :: v_dual_mov_b32 v204, v29
	v_mul_f64_e32 v[29:30], s[34:35], v[6:7]
	v_dual_mov_b32 v207, v32 :: v_dual_mov_b32 v206, v31
	v_add_f64_e32 v[15:16], v[208:209], v[15:16]
	v_add_f64_e32 v[13:14], v[210:211], v[13:14]
	v_dual_mov_b32 v211, v18 :: v_dual_mov_b32 v210, v17
	v_mul_f64_e32 v[17:18], s[38:39], v[6:7]
	v_dual_mov_b32 v209, v34 :: v_dual_mov_b32 v208, v33
	v_mul_f64_e32 v[33:34], s[24:25], v[6:7]
	v_fma_f64 v[31:32], v[8:9], s[20:21], v[29:30]
	v_fma_f64 v[29:30], v[8:9], s[20:21], -v[29:30]
	v_add_f64_e32 v[15:16], v[196:197], v[15:16]
	v_add_f64_e32 v[13:14], v[198:199], v[13:14]
	v_mul_f64_e32 v[196:197], s[46:47], v[0:1]
	v_mul_f64_e32 v[198:199], s[46:47], v[90:91]
	v_fma_f64 v[19:20], v[8:9], s[28:29], v[17:18]
	v_fma_f64 v[17:18], v[8:9], s[28:29], -v[17:18]
	v_add_f64_e32 v[29:30], v[150:151], v[29:30]
	v_add_f64_e32 v[15:16], v[164:165], v[15:16]
	;; [unrolled: 1-line block ×5, first 2 shown]
	s_delay_alu instid0(VALU_DEP_4) | instskip(NEXT) | instid1(VALU_DEP_4)
	v_add_f64_e32 v[15:16], v[168:169], v[15:16]
	v_add_f64_e32 v[13:14], v[170:171], v[13:14]
	s_delay_alu instid0(VALU_DEP_2) | instskip(NEXT) | instid1(VALU_DEP_2)
	v_add_f64_e32 v[15:16], v[172:173], v[15:16]
	v_add_f64_e32 v[13:14], v[174:175], v[13:14]
	s_delay_alu instid0(VALU_DEP_2) | instskip(NEXT) | instid1(VALU_DEP_2)
	v_add_f64_e32 v[15:16], v[160:161], v[15:16]
	v_add_f64_e32 v[13:14], v[162:163], v[13:14]
	v_mul_f64_e32 v[160:161], s[46:47], v[4:5]
	v_mul_f64_e32 v[162:163], s[34:35], v[4:5]
	s_delay_alu instid0(VALU_DEP_4) | instskip(NEXT) | instid1(VALU_DEP_4)
	v_add_f64_e32 v[15:16], v[152:153], v[15:16]
	v_add_f64_e32 v[13:14], v[154:155], v[13:14]
	v_dual_mov_b32 v155, v26 :: v_dual_mov_b32 v154, v25
	v_mul_f64_e32 v[25:26], s[46:47], v[6:7]
	v_fma_f64 v[170:171], v[2:3], s[22:23], -v[160:161]
	v_fma_f64 v[152:153], v[8:9], s[18:19], v[33:34]
	v_fma_f64 v[172:173], v[2:3], s[20:21], -v[162:163]
	v_fma_f64 v[160:161], v[2:3], s[22:23], v[160:161]
	v_fma_f64 v[162:163], v[2:3], s[20:21], v[162:163]
	v_add_f64_e32 v[15:16], v[156:157], v[15:16]
	scratch_load_b64 v[156:157], off, off offset:412 th:TH_LOAD_LU ; 8-byte Folded Reload
	v_add_f64_e32 v[13:14], v[158:159], v[13:14]
	v_mul_f64_e32 v[158:159], s[36:37], v[4:5]
	v_fma_f64 v[27:28], v[8:9], s[22:23], v[25:26]
	v_fma_f64 v[25:26], v[8:9], s[22:23], -v[25:26]
	v_add_f64_e32 v[160:161], v[148:149], v[160:161]
	v_add_f64_e32 v[136:137], v[136:137], v[15:16]
	v_add_f64_e32 v[138:139], v[138:139], v[13:14]
	v_mul_f64_e32 v[13:14], s[48:49], v[6:7]
	v_add_f64_e32 v[21:22], v[150:151], v[27:28]
	v_fma_f64 v[168:169], v[2:3], s[26:27], -v[158:159]
	v_fma_f64 v[158:159], v[2:3], s[26:27], v[158:159]
	v_add_f64_e32 v[182:183], v[150:151], v[25:26]
	v_fma_f64 v[15:16], v[8:9], s[30:31], v[13:14]
	v_fma_f64 v[13:14], v[8:9], s[30:31], -v[13:14]
	v_fma_f64 v[8:9], v[8:9], s[18:19], -v[33:34]
	v_mul_f64_e32 v[33:34], s[16:17], v[6:7]
	scratch_store_b64 off, v[21:22], off offset:452 ; 8-byte Folded Spill
	v_add_f64_e32 v[21:22], v[148:149], v[170:171]
	v_mul_f64_e32 v[6:7], s[14:15], v[6:7]
	v_add_f64_e32 v[158:159], v[148:149], v[158:159]
	v_add_f64_e32 v[15:16], v[150:151], v[15:16]
	;; [unrolled: 1-line block ×4, first 2 shown]
	v_add_f64_e64 v[10:11], v[10:11], -v[33:34]
	v_mul_f64_e32 v[33:34], s[10:11], v[2:3]
	scratch_store_b64 off, v[21:22], off offset:444 ; 8-byte Folded Spill
	v_add_f64_e32 v[21:22], v[150:151], v[31:32]
	v_add_f64_e64 v[6:7], v[154:155], -v[6:7]
	v_mul_f64_e32 v[154:155], s[48:49], v[4:5]
	v_add_f64_e32 v[31:32], v[148:149], v[162:163]
	v_add_f64_e32 v[10:11], v[150:151], v[10:11]
	scratch_store_b64 off, v[21:22], off offset:436 ; 8-byte Folded Spill
	v_add_f64_e32 v[21:22], v[148:149], v[172:173]
	v_fma_f64 v[164:165], v[2:3], s[30:31], -v[154:155]
	v_fma_f64 v[154:155], v[2:3], s[30:31], v[154:155]
	scratch_store_b64 off, v[21:22], off offset:428 ; 8-byte Folded Spill
	v_add_f64_e32 v[21:22], v[150:151], v[152:153]
	scratch_store_b64 off, v[23:24], off offset:468 ; 8-byte Folded Spill
	v_add_f64_e32 v[23:24], v[148:149], v[168:169]
	v_add_f64_e32 v[164:165], v[148:149], v[164:165]
	;; [unrolled: 1-line block ×3, first 2 shown]
	v_mul_f64_e32 v[152:153], s[38:39], v[37:38]
	scratch_store_b64 off, v[21:22], off offset:420 ; 8-byte Folded Spill
	s_wait_loadcnt 0x0
	v_add_f64_e32 v[33:34], v[33:34], v[156:157]
	v_mul_f64_e32 v[156:157], s[38:39], v[4:5]
	v_mul_f64_e32 v[4:5], s[24:25], v[4:5]
	s_delay_alu instid0(VALU_DEP_2) | instskip(SKIP_1) | instid1(VALU_DEP_3)
	v_fma_f64 v[166:167], v[2:3], s[28:29], -v[156:157]
	v_fma_f64 v[156:157], v[2:3], s[28:29], v[156:157]
	v_fma_f64 v[174:175], v[2:3], s[18:19], -v[4:5]
	v_fma_f64 v[4:5], v[2:3], s[18:19], v[4:5]
	v_mul_f64_e32 v[2:3], s[2:3], v[2:3]
	v_add_f64_e32 v[166:167], v[148:149], v[166:167]
	v_add_f64_e32 v[156:157], v[148:149], v[156:157]
	;; [unrolled: 1-line block ×3, first 2 shown]
	scratch_store_b64 off, v[23:24], off offset:460 ; 8-byte Folded Spill
	v_add_f64_e32 v[2:3], v[2:3], v[62:63]
	v_add_f64_e32 v[27:28], v[148:149], v[4:5]
	;; [unrolled: 1-line block ×3, first 2 shown]
	v_mul_f64_e32 v[6:7], s[50:51], v[35:36]
	scratch_store_b64 off, v[21:22], off offset:412 ; 8-byte Folded Spill
	v_add_f64_e32 v[21:22], v[148:149], v[33:34]
	v_add_f64_e32 v[33:34], v[148:149], v[2:3]
	v_mul_f64_e32 v[2:3], s[50:51], v[231:232]
	v_fma_f64 v[8:9], v[212:213], s[2:3], -v[6:7]
	v_fma_f64 v[6:7], v[212:213], s[2:3], v[6:7]
	s_delay_alu instid0(VALU_DEP_3) | instskip(SKIP_1) | instid1(VALU_DEP_4)
	v_fma_f64 v[4:5], v[214:215], s[2:3], v[2:3]
	v_fma_f64 v[2:3], v[214:215], s[2:3], -v[2:3]
	v_add_f64_e32 v[8:9], v[8:9], v[164:165]
	v_mul_f64_e32 v[164:165], s[54:55], v[253:254]
	v_add_f64_e32 v[6:7], v[6:7], v[154:155]
	v_add_f64_e32 v[4:5], v[4:5], v[15:16]
	v_mul_f64_e32 v[15:16], s[38:39], v[243:244]
	v_add_f64_e32 v[2:3], v[2:3], v[13:14]
	s_delay_alu instid0(VALU_DEP_2) | instskip(NEXT) | instid1(VALU_DEP_1)
	v_fma_f64 v[148:149], v[218:219], s[28:29], v[15:16]
	v_add_f64_e32 v[4:5], v[148:149], v[4:5]
	v_fma_f64 v[148:149], v[216:217], s[28:29], -v[152:153]
	s_delay_alu instid0(VALU_DEP_1) | instskip(SKIP_1) | instid1(VALU_DEP_1)
	v_add_f64_e32 v[8:9], v[148:149], v[8:9]
	v_fma_f64 v[148:149], v[224:225], s[10:11], v[164:165]
	v_add_f64_e32 v[4:5], v[148:149], v[4:5]
	v_fma_f64 v[148:149], v[220:221], s[10:11], -v[186:187]
	s_delay_alu instid0(VALU_DEP_1) | instskip(SKIP_1) | instid1(VALU_DEP_1)
	v_add_f64_e32 v[8:9], v[148:149], v[8:9]
	;; [unrolled: 5-line block ×5, first 2 shown]
	v_fma_f64 v[148:149], v[249:250], s[20:21], v[200:201]
	v_add_f64_e32 v[150:151], v[148:149], v[4:5]
	v_mul_f64_e32 v[4:5], s[52:53], v[86:87]
	s_delay_alu instid0(VALU_DEP_1) | instskip(SKIP_1) | instid1(VALU_DEP_2)
	v_fma_f64 v[148:149], v[247:248], s[20:21], -v[4:5]
	v_fma_f64 v[13:14], v[247:248], s[20:21], v[4:5]
	v_add_f64_e32 v[148:149], v[148:149], v[8:9]
	v_fma_f64 v[8:9], v[218:219], s[28:29], -v[15:16]
	v_mul_f64_e32 v[15:16], s[42:43], v[35:36]
	s_delay_alu instid0(VALU_DEP_2) | instskip(SKIP_1) | instid1(VALU_DEP_1)
	v_add_f64_e32 v[2:3], v[8:9], v[2:3]
	v_fma_f64 v[8:9], v[216:217], s[28:29], v[152:153]
	v_add_f64_e32 v[6:7], v[8:9], v[6:7]
	v_fma_f64 v[8:9], v[224:225], s[10:11], -v[164:165]
	s_delay_alu instid0(VALU_DEP_1) | instskip(SKIP_1) | instid1(VALU_DEP_1)
	v_add_f64_e32 v[2:3], v[8:9], v[2:3]
	v_fma_f64 v[8:9], v[220:221], s[10:11], v[186:187]
	v_add_f64_e32 v[6:7], v[8:9], v[6:7]
	v_fma_f64 v[8:9], v[233:234], s[26:27], -v[188:189]
	s_delay_alu instid0(VALU_DEP_1) | instskip(SKIP_1) | instid1(VALU_DEP_1)
	v_add_f64_e32 v[2:3], v[8:9], v[2:3]
	v_fma_f64 v[8:9], v[226:227], s[26:27], v[190:191]
	v_add_f64_e32 v[6:7], v[8:9], v[6:7]
	v_fma_f64 v[8:9], v[237:238], s[18:19], -v[192:193]
	s_delay_alu instid0(VALU_DEP_1) | instskip(SKIP_1) | instid1(VALU_DEP_1)
	v_add_f64_e32 v[2:3], v[8:9], v[2:3]
	v_fma_f64 v[8:9], v[235:236], s[18:19], v[194:195]
	v_add_f64_e32 v[6:7], v[8:9], v[6:7]
	v_fma_f64 v[8:9], v[245:246], s[22:23], -v[196:197]
	s_delay_alu instid0(VALU_DEP_1) | instskip(SKIP_2) | instid1(VALU_DEP_2)
	v_add_f64_e32 v[2:3], v[8:9], v[2:3]
	v_fma_f64 v[8:9], v[239:240], s[22:23], v[198:199]
	v_mul_f64_e32 v[198:199], s[46:47], v[88:89]
	v_add_f64_e32 v[6:7], v[8:9], v[6:7]
	v_fma_f64 v[8:9], v[249:250], s[20:21], -v[200:201]
	v_mul_f64_e32 v[200:201], s[46:47], v[86:87]
	s_delay_alu instid0(VALU_DEP_2) | instskip(NEXT) | instid1(VALU_DEP_4)
	v_add_f64_e32 v[4:5], v[8:9], v[2:3]
	v_add_f64_e32 v[2:3], v[13:14], v[6:7]
	v_mul_f64_e32 v[13:14], s[42:43], v[231:232]
	v_fma_f64 v[8:9], v[212:213], s[18:19], -v[15:16]
	v_fma_f64 v[15:16], v[212:213], s[18:19], v[15:16]
	s_delay_alu instid0(VALU_DEP_3) | instskip(NEXT) | instid1(VALU_DEP_3)
	v_fma_f64 v[6:7], v[214:215], s[18:19], v[13:14]
	v_add_f64_e32 v[8:9], v[8:9], v[166:167]
	v_fma_f64 v[13:14], v[214:215], s[18:19], -v[13:14]
	s_delay_alu instid0(VALU_DEP_4) | instskip(SKIP_4) | instid1(VALU_DEP_4)
	v_add_f64_e32 v[15:16], v[15:16], v[156:157]
	v_mul_f64_e32 v[156:157], s[18:19], v[216:217]
	v_add_f64_e32 v[6:7], v[6:7], v[19:20]
	v_mul_f64_e32 v[19:20], s[34:35], v[243:244]
	v_add_f64_e32 v[13:14], v[13:14], v[17:18]
	v_add_f64_e32 v[156:157], v[156:157], v[60:61]
	s_delay_alu instid0(VALU_DEP_3) | instskip(SKIP_2) | instid1(VALU_DEP_3)
	v_fma_f64 v[152:153], v[218:219], s[20:21], v[19:20]
	v_fma_f64 v[17:18], v[218:219], s[20:21], -v[19:20]
	v_fma_f64 v[19:20], v[247:248], s[22:23], v[200:201]
	v_add_f64_e32 v[6:7], v[152:153], v[6:7]
	v_mul_f64_e32 v[152:153], s[34:35], v[37:38]
	s_delay_alu instid0(VALU_DEP_4) | instskip(NEXT) | instid1(VALU_DEP_2)
	v_add_f64_e32 v[13:14], v[17:18], v[13:14]
	v_fma_f64 v[154:155], v[216:217], s[20:21], -v[152:153]
	v_fma_f64 v[17:18], v[216:217], s[20:21], v[152:153]
	v_mul_f64_e32 v[152:153], s[16:17], v[231:232]
	s_delay_alu instid0(VALU_DEP_3) | instskip(SKIP_1) | instid1(VALU_DEP_4)
	v_add_f64_e32 v[8:9], v[154:155], v[8:9]
	v_mul_f64_e32 v[154:155], s[56:57], v[253:254]
	v_add_f64_e32 v[15:16], v[17:18], v[15:16]
	s_delay_alu instid0(VALU_DEP_4) | instskip(NEXT) | instid1(VALU_DEP_3)
	v_add_f64_e64 v[152:153], v[54:55], -v[152:153]
	v_fma_f64 v[164:165], v[224:225], s[26:27], v[154:155]
	v_fma_f64 v[17:18], v[224:225], s[26:27], -v[154:155]
	s_delay_alu instid0(VALU_DEP_3)
	v_add_f64_e32 v[23:24], v[152:153], v[23:24]
	v_mul_f64_e32 v[154:155], s[20:21], v[220:221]
	v_mul_f64_e32 v[152:153], s[26:27], v[235:236]
	v_add_f64_e32 v[6:7], v[164:165], v[6:7]
	v_mul_f64_e32 v[164:165], s[56:57], v[44:45]
	v_add_f64_e32 v[13:14], v[17:18], v[13:14]
	v_add_f64_e32 v[154:155], v[154:155], v[93:94]
	;; [unrolled: 1-line block ×3, first 2 shown]
	s_delay_alu instid0(VALU_DEP_4) | instskip(SKIP_2) | instid1(VALU_DEP_3)
	v_fma_f64 v[166:167], v[220:221], s[26:27], -v[164:165]
	v_fma_f64 v[17:18], v[220:221], s[26:27], v[164:165]
	v_mul_f64_e32 v[164:165], s[10:11], v[212:213]
	v_add_f64_e32 v[8:9], v[166:167], v[8:9]
	v_mul_f64_e32 v[166:167], s[14:15], v[82:83]
	s_delay_alu instid0(VALU_DEP_4) | instskip(NEXT) | instid1(VALU_DEP_4)
	v_add_f64_e32 v[15:16], v[17:18], v[15:16]
	v_add_f64_e32 v[164:165], v[164:165], v[52:53]
	scratch_load_b64 v[52:53], off, off offset:372 th:TH_LOAD_LU ; 8-byte Folded Reload
	v_fma_f64 v[186:187], v[233:234], s[2:3], v[166:167]
	v_fma_f64 v[17:18], v[233:234], s[2:3], -v[166:167]
	v_mul_f64_e32 v[166:167], s[46:47], v[82:83]
	v_add_f64_e32 v[33:34], v[164:165], v[33:34]
	v_mul_f64_e32 v[164:165], s[20:21], v[212:213]
	v_add_f64_e32 v[6:7], v[186:187], v[6:7]
	;; [unrolled: 2-line block ×3, first 2 shown]
	v_add_f64_e64 v[166:167], v[111:112], -v[166:167]
	v_add_f64_e32 v[164:165], v[164:165], v[117:118]
	v_dual_mov_b32 v111, v79 :: v_dual_mov_b32 v110, v78
	v_dual_mov_b32 v109, v77 :: v_dual_mov_b32 v108, v76
	v_fma_f64 v[188:189], v[226:227], s[2:3], -v[186:187]
	v_fma_f64 v[17:18], v[226:227], s[2:3], v[186:187]
	v_mul_f64_e32 v[186:187], s[22:23], v[226:227]
	v_add_f64_e32 v[21:22], v[164:165], v[21:22]
	v_mul_f64_e32 v[164:165], s[48:49], v[35:36]
	v_add_f64_e32 v[8:9], v[188:189], v[8:9]
	;; [unrolled: 2-line block ×3, first 2 shown]
	v_add_f64_e32 v[186:187], v[186:187], v[95:96]
	s_delay_alu instid0(VALU_DEP_3) | instskip(SKIP_2) | instid1(VALU_DEP_3)
	v_fma_f64 v[190:191], v[237:238], s[30:31], v[188:189]
	v_fma_f64 v[17:18], v[237:238], s[30:31], -v[188:189]
	v_mul_f64_e32 v[188:189], s[36:37], v[84:85]
	v_add_f64_e32 v[6:7], v[190:191], v[6:7]
	v_mul_f64_e32 v[190:191], s[48:49], v[122:123]
	s_delay_alu instid0(VALU_DEP_4) | instskip(NEXT) | instid1(VALU_DEP_4)
	v_add_f64_e32 v[13:14], v[17:18], v[13:14]
	v_add_f64_e64 v[188:189], v[115:116], -v[188:189]
	s_delay_alu instid0(VALU_DEP_3) | instskip(SKIP_2) | instid1(VALU_DEP_3)
	v_fma_f64 v[192:193], v[235:236], s[30:31], -v[190:191]
	v_fma_f64 v[17:18], v[235:236], s[30:31], v[190:191]
	v_mul_f64_e32 v[190:191], s[48:49], v[46:47]
	v_add_f64_e32 v[8:9], v[192:193], v[8:9]
	v_mul_f64_e32 v[192:193], s[54:55], v[0:1]
	s_delay_alu instid0(VALU_DEP_4) | instskip(NEXT) | instid1(VALU_DEP_2)
	v_add_f64_e32 v[15:16], v[17:18], v[15:16]
	v_fma_f64 v[194:195], v[245:246], s[10:11], v[192:193]
	v_fma_f64 v[17:18], v[245:246], s[10:11], -v[192:193]
	s_delay_alu instid0(VALU_DEP_2) | instskip(SKIP_1) | instid1(VALU_DEP_3)
	v_add_f64_e32 v[6:7], v[194:195], v[6:7]
	v_mul_f64_e32 v[194:195], s[54:55], v[90:91]
	v_add_f64_e32 v[13:14], v[17:18], v[13:14]
	s_delay_alu instid0(VALU_DEP_2) | instskip(SKIP_1) | instid1(VALU_DEP_2)
	v_fma_f64 v[17:18], v[239:240], s[10:11], v[194:195]
	v_fma_f64 v[196:197], v[239:240], s[10:11], -v[194:195]
	v_add_f64_e32 v[17:18], v[17:18], v[15:16]
	v_fma_f64 v[15:16], v[249:250], s[22:23], -v[198:199]
	s_delay_alu instid0(VALU_DEP_3) | instskip(SKIP_2) | instid1(VALU_DEP_4)
	v_add_f64_e32 v[196:197], v[196:197], v[8:9]
	v_fma_f64 v[8:9], v[249:250], s[22:23], v[198:199]
	v_mul_f64_e32 v[198:199], s[44:45], v[44:45]
	v_add_f64_e32 v[15:16], v[15:16], v[13:14]
	v_add_f64_e32 v[13:14], v[19:20], v[17:18]
	v_mul_f64_e32 v[19:20], s[24:25], v[243:244]
	v_mul_f64_e32 v[17:18], s[34:35], v[253:254]
	v_add_f64_e32 v[8:9], v[8:9], v[6:7]
	v_fma_f64 v[6:7], v[247:248], s[22:23], -v[200:201]
	v_mul_f64_e32 v[200:201], s[54:55], v[82:83]
	v_add_f64_e64 v[19:20], v[80:81], -v[19:20]
	v_add_f64_e64 v[17:18], v[97:98], -v[17:18]
	v_dual_mov_b32 v99, v67 :: v_dual_mov_b32 v98, v66
	v_add_f64_e32 v[6:7], v[6:7], v[196:197]
	v_mul_f64_e32 v[196:197], s[44:45], v[253:254]
	v_dual_mov_b32 v97, v65 :: v_dual_mov_b32 v96, v64
	v_dual_mov_b32 v67, v222 :: v_dual_mov_b32 v64, v36
	;; [unrolled: 1-line block ×3, first 2 shown]
	v_mov_b32_e32 v65, v37
	v_dual_mov_b32 v81, v45 :: v_dual_mov_b32 v80, v44
	v_dual_mov_b32 v222, v92 :: v_dual_mov_b32 v95, v59
	v_mov_b32_e32 v92, v56
	v_mov_b32_e32 v94, v58
	v_add_f64_e32 v[19:20], v[19:20], v[23:24]
	v_add_f64_e32 v[23:24], v[156:157], v[33:34]
	v_mul_f64_e32 v[33:34], s[38:39], v[0:1]
	v_mul_f64_e32 v[156:157], s[26:27], v[216:217]
	s_delay_alu instid0(VALU_DEP_4) | instskip(NEXT) | instid1(VALU_DEP_4)
	v_add_f64_e32 v[17:18], v[17:18], v[19:20]
	v_add_f64_e32 v[19:20], v[154:155], v[23:24]
	s_delay_alu instid0(VALU_DEP_4)
	v_add_f64_e64 v[33:34], v[241:242], -v[33:34]
	v_mul_f64_e32 v[23:24], s[28:29], v[239:240]
	v_mul_f64_e32 v[154:155], s[48:49], v[88:89]
	v_add_f64_e32 v[156:157], v[156:157], v[176:177]
	v_mul_f64_e32 v[241:242], s[44:45], v[243:244]
	v_add_f64_e32 v[17:18], v[166:167], v[17:18]
	v_add_f64_e32 v[19:20], v[186:187], v[19:20]
	v_mul_f64_e32 v[166:167], s[40:41], v[82:83]
	v_add_f64_e32 v[23:24], v[23:24], v[113:114]
	v_add_f64_e64 v[154:155], v[184:185], -v[154:155]
	v_mul_f64_e32 v[186:187], s[28:29], v[226:227]
	v_add_f64_e32 v[21:22], v[156:157], v[21:22]
	v_mul_f64_e32 v[156:157], s[48:49], v[231:232]
	v_dual_mov_b32 v115, v103 :: v_dual_mov_b32 v112, v100
	v_dual_mov_b32 v114, v102 :: v_dual_mov_b32 v113, v101
	;; [unrolled: 1-line block ×4, first 2 shown]
	v_mov_b32_e32 v70, v229
	v_mul_f64_e32 v[68:69], s[38:39], v[88:89]
	v_mul_f64_e32 v[229:230], s[38:39], v[86:87]
	v_add_f64_e32 v[17:18], v[188:189], v[17:18]
	v_add_f64_e32 v[19:20], v[152:153], v[19:20]
	v_mul_f64_e32 v[152:153], s[30:31], v[247:248]
	v_mul_f64_e32 v[188:189], s[44:45], v[84:85]
	v_add_f64_e32 v[186:187], v[186:187], v[202:203]
	v_mul_f64_e32 v[202:203], s[54:55], v[46:47]
	v_add_f64_e32 v[17:18], v[33:34], v[17:18]
	scratch_load_b64 v[33:34], off, off offset:404 th:TH_LOAD_LU ; 8-byte Folded Reload
	v_add_f64_e32 v[152:153], v[152:153], v[119:120]
	v_add_f64_e32 v[23:24], v[23:24], v[19:20]
	v_dual_mov_b32 v119, v107 :: v_dual_mov_b32 v118, v106
	v_dual_mov_b32 v117, v105 :: v_dual_mov_b32 v116, v104
	;; [unrolled: 1-line block ×6, first 2 shown]
	v_mul_f64_e32 v[39:40], s[50:51], v[44:45]
	v_mul_f64_e32 v[43:44], s[24:25], v[46:47]
	v_dual_mov_b32 v78, v51 :: v_dual_mov_b32 v121, v47
	v_dual_mov_b32 v120, v46 :: v_dual_mov_b32 v77, v50
	;; [unrolled: 1-line block ×3, first 2 shown]
	v_mul_f64_e32 v[47:48], s[38:39], v[122:123]
	v_mov_b32_e32 v93, v57
	v_mul_f64_e32 v[55:56], s[54:55], v[88:89]
	v_mul_f64_e32 v[57:58], s[54:55], v[86:87]
	;; [unrolled: 1-line block ×3, first 2 shown]
	v_add_f64_e32 v[19:20], v[154:155], v[17:18]
	v_mul_f64_e32 v[154:155], s[30:31], v[220:221]
	v_add_f64_e32 v[17:18], v[152:153], v[23:24]
	v_mul_f64_e32 v[23:24], s[48:49], v[253:254]
	v_mul_f64_e32 v[152:153], s[34:35], v[231:232]
	v_fma_f64 v[41:42], v[220:221], s[2:3], v[39:40]
	v_fma_f64 v[45:46], v[226:227], s[18:19], v[43:44]
	;; [unrolled: 1-line block ×3, first 2 shown]
	v_fma_f64 v[61:62], v[249:250], s[26:27], -v[59:60]
	v_fma_f64 v[59:60], v[249:250], s[26:27], v[59:60]
	v_add_f64_e32 v[154:155], v[154:155], v[204:205]
	v_mul_f64_e32 v[204:205], s[14:15], v[84:85]
	v_add_f64_e64 v[152:153], v[180:181], -v[152:153]
	s_delay_alu instid0(VALU_DEP_3) | instskip(SKIP_2) | instid1(VALU_DEP_4)
	v_add_f64_e32 v[21:22], v[154:155], v[21:22]
	v_mul_f64_e32 v[154:155], s[50:51], v[88:89]
	v_mul_f64_e32 v[88:89], s[42:43], v[88:89]
	v_add_f64_e32 v[10:11], v[152:153], v[10:11]
	v_mul_f64_e32 v[152:153], s[22:23], v[235:236]
	v_add_f64_e32 v[21:22], v[186:187], v[21:22]
	v_add_f64_e64 v[154:155], v[210:211], -v[154:155]
	v_mul_f64_e32 v[186:187], s[48:49], v[90:91]
	v_mul_f64_e32 v[210:211], s[34:35], v[90:91]
	v_add_f64_e32 v[152:153], v[152:153], v[206:207]
	v_mul_f64_e32 v[206:207], s[14:15], v[122:123]
	s_delay_alu instid0(VALU_DEP_2) | instskip(SKIP_4) | instid1(VALU_DEP_1)
	v_add_f64_e32 v[21:22], v[152:153], v[21:22]
	v_mul_f64_e32 v[152:153], s[2:3], v[247:248]
	s_wait_loadcnt 0x0
	v_add_f64_e64 v[23:24], v[33:34], -v[23:24]
	v_mul_f64_e32 v[33:34], s[36:37], v[243:244]
	v_add_f64_e64 v[33:34], v[52:53], -v[33:34]
	scratch_load_b64 v[52:53], off, off offset:380 th:TH_LOAD_LU ; 8-byte Folded Reload
	v_add_f64_e32 v[10:11], v[33:34], v[10:11]
	v_mul_f64_e32 v[33:34], s[42:43], v[0:1]
	s_delay_alu instid0(VALU_DEP_2) | instskip(SKIP_1) | instid1(VALU_DEP_1)
	v_add_f64_e32 v[10:11], v[23:24], v[10:11]
	v_mul_f64_e32 v[23:24], s[18:19], v[239:240]
	v_add_f64_e32 v[23:24], v[23:24], v[208:209]
	v_mul_f64_e32 v[208:209], s[34:35], v[0:1]
	s_delay_alu instid0(VALU_DEP_2)
	v_add_f64_e32 v[21:22], v[23:24], v[21:22]
	s_wait_loadcnt 0x0
	v_add_f64_e64 v[166:167], v[52:53], -v[166:167]
	scratch_load_b64 v[52:53], off, off offset:388 th:TH_LOAD_LU ; 8-byte Folded Reload
	v_add_f64_e32 v[10:11], v[166:167], v[10:11]
	v_mul_f64_e32 v[166:167], s[48:49], v[0:1]
	s_wait_loadcnt 0x0
	v_add_f64_e64 v[188:189], v[52:53], -v[188:189]
	scratch_load_b64 v[52:53], off, off offset:396 th:TH_LOAD_LU ; 8-byte Folded Reload
	v_add_f64_e32 v[10:11], v[188:189], v[10:11]
	v_mul_f64_e32 v[188:189], s[48:49], v[82:83]
	s_mov_b32 s49, 0x3fc7851a
	s_wait_alu 0xfffe
	v_mul_f64_e32 v[192:193], s[48:49], v[243:244]
	v_mul_f64_e32 v[194:195], s[48:49], v[37:38]
	s_wait_loadcnt 0x0
	v_add_f64_e64 v[33:34], v[52:53], -v[33:34]
	scratch_load_b64 v[52:53], off, off offset:364 th:TH_LOAD_LU ; 8-byte Folded Reload
	v_add_f64_e32 v[10:11], v[33:34], v[10:11]
	s_delay_alu instid0(VALU_DEP_1) | instskip(SKIP_1) | instid1(VALU_DEP_1)
	v_add_f64_e32 v[23:24], v[154:155], v[10:11]
	v_mul_f64_e32 v[10:11], s[36:37], v[231:232]
	v_fma_f64 v[33:34], v[214:215], s[26:27], -v[10:11]
	s_delay_alu instid0(VALU_DEP_1) | instskip(SKIP_2) | instid1(VALU_DEP_1)
	v_add_f64_e32 v[25:26], v[33:34], v[25:26]
	v_mul_f64_e32 v[33:34], s[36:37], v[35:36]
	v_mul_f64_e32 v[35:36], s[44:45], v[37:38]
	v_fma_f64 v[37:38], v[216:217], s[22:23], v[35:36]
	v_fma_f64 v[35:36], v[216:217], s[22:23], -v[35:36]
	s_wait_loadcnt 0x0
	v_add_f64_e32 v[152:153], v[152:153], v[52:53]
	v_mul_f64_e32 v[51:52], s[56:57], v[90:91]
	v_mul_f64_e32 v[90:91], s[14:15], v[90:91]
	s_delay_alu instid0(VALU_DEP_3) | instskip(SKIP_1) | instid1(VALU_DEP_4)
	v_add_f64_e32 v[21:22], v[152:153], v[21:22]
	v_fma_f64 v[152:153], v[212:213], s[26:27], v[33:34]
	v_fma_f64 v[53:54], v[239:240], s[26:27], v[51:52]
	s_delay_alu instid0(VALU_DEP_2) | instskip(SKIP_1) | instid1(VALU_DEP_1)
	v_add_f64_e32 v[27:28], v[152:153], v[27:28]
	v_fma_f64 v[152:153], v[218:219], s[30:31], -v[192:193]
	v_add_f64_e32 v[25:26], v[152:153], v[25:26]
	v_fma_f64 v[152:153], v[216:217], s[30:31], v[194:195]
	s_delay_alu instid0(VALU_DEP_1) | instskip(SKIP_1) | instid1(VALU_DEP_1)
	v_add_f64_e32 v[27:28], v[152:153], v[27:28]
	v_fma_f64 v[152:153], v[224:225], s[22:23], -v[196:197]
	v_add_f64_e32 v[25:26], v[152:153], v[25:26]
	v_fma_f64 v[152:153], v[220:221], s[22:23], v[198:199]
	s_delay_alu instid0(VALU_DEP_1) | instskip(SKIP_1) | instid1(VALU_DEP_1)
	;; [unrolled: 5-line block ×6, first 2 shown]
	v_add_f64_e32 v[25:26], v[25:26], v[152:153]
	v_fma_f64 v[152:153], v[214:215], s[30:31], -v[156:157]
	v_add_f64_e32 v[29:30], v[152:153], v[29:30]
	v_fma_f64 v[152:153], v[212:213], s[30:31], v[164:165]
	s_delay_alu instid0(VALU_DEP_1) | instskip(SKIP_1) | instid1(VALU_DEP_2)
	v_add_f64_e32 v[31:32], v[152:153], v[31:32]
	v_fma_f64 v[152:153], v[218:219], s[22:23], -v[241:242]
	v_add_f64_e32 v[31:32], v[37:38], v[31:32]
	v_mul_f64_e32 v[37:38], s[50:51], v[253:254]
	s_delay_alu instid0(VALU_DEP_3) | instskip(NEXT) | instid1(VALU_DEP_3)
	v_add_f64_e32 v[29:30], v[152:153], v[29:30]
	v_add_f64_e32 v[31:32], v[41:42], v[31:32]
	s_delay_alu instid0(VALU_DEP_3) | instskip(SKIP_2) | instid1(VALU_DEP_4)
	v_fma_f64 v[152:153], v[224:225], s[2:3], -v[37:38]
	v_mul_f64_e32 v[41:42], s[24:25], v[82:83]
	v_fma_f64 v[37:38], v[224:225], s[2:3], v[37:38]
	v_add_f64_e32 v[31:32], v[45:46], v[31:32]
	s_delay_alu instid0(VALU_DEP_4) | instskip(NEXT) | instid1(VALU_DEP_4)
	v_add_f64_e32 v[29:30], v[152:153], v[29:30]
	v_fma_f64 v[152:153], v[233:234], s[18:19], -v[41:42]
	v_mul_f64_e32 v[45:46], s[38:39], v[84:85]
	s_delay_alu instid0(VALU_DEP_4) | instskip(SKIP_1) | instid1(VALU_DEP_4)
	v_add_f64_e32 v[31:32], v[49:50], v[31:32]
	v_mul_f64_e32 v[49:50], s[56:57], v[0:1]
	v_add_f64_e32 v[29:30], v[152:153], v[29:30]
	s_delay_alu instid0(VALU_DEP_4) | instskip(SKIP_3) | instid1(VALU_DEP_4)
	v_fma_f64 v[152:153], v[237:238], s[28:29], -v[45:46]
	v_mul_f64_e32 v[0:1], s[14:15], v[0:1]
	v_add_f64_e32 v[53:54], v[53:54], v[31:32]
	v_fma_f64 v[31:32], v[249:250], s[10:11], -v[55:56]
	v_add_f64_e32 v[29:30], v[152:153], v[29:30]
	v_fma_f64 v[152:153], v[245:246], s[26:27], -v[49:50]
	s_delay_alu instid0(VALU_DEP_1) | instskip(NEXT) | instid1(VALU_DEP_1)
	v_add_f64_e32 v[29:30], v[152:153], v[29:30]
	v_add_f64_e32 v[31:32], v[31:32], v[29:30]
	v_fma_f64 v[29:30], v[247:248], s[10:11], v[57:58]
	s_delay_alu instid0(VALU_DEP_1) | instskip(SKIP_1) | instid1(VALU_DEP_1)
	v_add_f64_e32 v[29:30], v[29:30], v[53:54]
	v_mul_f64_e32 v[53:54], s[40:41], v[231:232]
	v_fma_f64 v[152:153], v[214:215], s[28:29], -v[53:54]
	v_fma_f64 v[53:54], v[214:215], s[28:29], v[53:54]
	s_delay_alu instid0(VALU_DEP_2) | instskip(SKIP_1) | instid1(VALU_DEP_1)
	v_add_f64_e32 v[152:153], v[152:153], v[182:183]
	v_mul_f64_e32 v[182:183], s[40:41], v[63:64]
	v_fma_f64 v[154:155], v[212:213], s[28:29], v[182:183]
	s_delay_alu instid0(VALU_DEP_1) | instskip(SKIP_1) | instid1(VALU_DEP_1)
	v_add_f64_e32 v[154:155], v[154:155], v[160:161]
	v_mul_f64_e32 v[160:161], s[54:55], v[243:244]
	v_fma_f64 v[174:175], v[218:219], s[10:11], -v[160:161]
	s_delay_alu instid0(VALU_DEP_1) | instskip(SKIP_1) | instid1(VALU_DEP_1)
	v_add_f64_e32 v[152:153], v[174:175], v[152:153]
	v_mul_f64_e32 v[174:175], s[54:55], v[65:66]
	v_fma_f64 v[162:163], v[216:217], s[10:11], v[174:175]
	s_delay_alu instid0(VALU_DEP_1) | instskip(SKIP_1) | instid1(VALU_DEP_1)
	v_add_f64_e32 v[154:155], v[162:163], v[154:155]
	v_mul_f64_e32 v[162:163], s[24:25], v[253:254]
	v_fma_f64 v[172:173], v[224:225], s[18:19], -v[162:163]
	s_delay_alu instid0(VALU_DEP_1) | instskip(SKIP_1) | instid1(VALU_DEP_1)
	v_add_f64_e32 v[152:153], v[172:173], v[152:153]
	v_mul_f64_e32 v[172:173], s[24:25], v[80:81]
	v_fma_f64 v[184:185], v[220:221], s[18:19], v[172:173]
	s_delay_alu instid0(VALU_DEP_1) | instskip(SKIP_1) | instid1(VALU_DEP_1)
	v_add_f64_e32 v[154:155], v[184:185], v[154:155]
	v_fma_f64 v[184:185], v[233:234], s[30:31], -v[188:189]
	v_add_f64_e32 v[152:153], v[184:185], v[152:153]
	v_fma_f64 v[184:185], v[226:227], s[30:31], v[190:191]
	s_delay_alu instid0(VALU_DEP_1) | instskip(SKIP_2) | instid1(VALU_DEP_2)
	v_add_f64_e32 v[154:155], v[184:185], v[154:155]
	v_mul_f64_e32 v[184:185], s[52:53], v[84:85]
	v_mul_f64_e32 v[84:85], s[16:17], v[84:85]
	v_fma_f64 v[170:171], v[237:238], s[20:21], -v[184:185]
	s_delay_alu instid0(VALU_DEP_1) | instskip(SKIP_1) | instid1(VALU_DEP_1)
	v_add_f64_e32 v[152:153], v[170:171], v[152:153]
	v_mul_f64_e32 v[170:171], s[52:53], v[122:123]
	v_fma_f64 v[180:181], v[235:236], s[20:21], v[170:171]
	s_delay_alu instid0(VALU_DEP_1) | instskip(SKIP_2) | instid1(VALU_DEP_2)
	v_add_f64_e32 v[154:155], v[180:181], v[154:155]
	v_fma_f64 v[180:181], v[245:246], s[2:3], -v[0:1]
	v_fma_f64 v[0:1], v[245:246], s[2:3], v[0:1]
	v_add_f64_e32 v[152:153], v[180:181], v[152:153]
	v_fma_f64 v[180:181], v[239:240], s[2:3], v[90:91]
	s_delay_alu instid0(VALU_DEP_1) | instskip(NEXT) | instid1(VALU_DEP_3)
	v_add_f64_e32 v[180:181], v[180:181], v[154:155]
	v_add_f64_e32 v[154:155], v[61:62], v[152:153]
	v_mul_f64_e32 v[61:62], s[36:37], v[86:87]
	v_mul_f64_e32 v[86:87], s[42:43], v[86:87]
	s_delay_alu instid0(VALU_DEP_2) | instskip(SKIP_1) | instid1(VALU_DEP_2)
	v_fma_f64 v[152:153], v[247:248], s[26:27], v[61:62]
	v_fma_f64 v[61:62], v[247:248], s[26:27], -v[61:62]
	v_add_f64_e32 v[152:153], v[152:153], v[180:181]
	v_mul_f64_e32 v[180:181], s[44:45], v[231:232]
	s_delay_alu instid0(VALU_DEP_1) | instskip(NEXT) | instid1(VALU_DEP_1)
	v_fma_f64 v[231:232], v[214:215], s[22:23], -v[180:181]
	v_add_f64_e32 v[178:179], v[231:232], v[178:179]
	v_mul_f64_e32 v[231:232], s[44:45], v[63:64]
	s_delay_alu instid0(VALU_DEP_1) | instskip(NEXT) | instid1(VALU_DEP_1)
	v_fma_f64 v[168:169], v[212:213], s[22:23], v[231:232]
	v_add_f64_e32 v[158:159], v[168:169], v[158:159]
	v_mul_f64_e32 v[168:169], s[14:15], v[243:244]
	s_delay_alu instid0(VALU_DEP_1) | instskip(SKIP_1) | instid1(VALU_DEP_2)
	v_fma_f64 v[243:244], v[218:219], s[2:3], -v[168:169]
	v_fma_f64 v[168:169], v[218:219], s[2:3], v[168:169]
	v_add_f64_e32 v[178:179], v[243:244], v[178:179]
	v_mul_f64_e32 v[243:244], s[14:15], v[65:66]
	v_mul_f64_e32 v[65:66], s[52:53], v[82:83]
	s_delay_alu instid0(VALU_DEP_2) | instskip(NEXT) | instid1(VALU_DEP_2)
	v_fma_f64 v[176:177], v[216:217], s[2:3], v[243:244]
	v_fma_f64 v[82:83], v[233:234], s[20:21], -v[65:66]
	v_fma_f64 v[65:66], v[233:234], s[20:21], v[65:66]
	s_delay_alu instid0(VALU_DEP_3) | instskip(SKIP_1) | instid1(VALU_DEP_1)
	v_add_f64_e32 v[158:159], v[176:177], v[158:159]
	v_mul_f64_e32 v[176:177], s[38:39], v[253:254]
	v_fma_f64 v[253:254], v[224:225], s[28:29], -v[176:177]
	v_fma_f64 v[176:177], v[224:225], s[28:29], v[176:177]
	s_delay_alu instid0(VALU_DEP_2) | instskip(SKIP_1) | instid1(VALU_DEP_2)
	v_add_f64_e32 v[178:179], v[253:254], v[178:179]
	v_mul_f64_e32 v[253:254], s[38:39], v[80:81]
	v_add_f64_e32 v[82:83], v[82:83], v[178:179]
	s_delay_alu instid0(VALU_DEP_2) | instskip(NEXT) | instid1(VALU_DEP_1)
	v_fma_f64 v[63:64], v[220:221], s[28:29], v[253:254]
	v_add_f64_e32 v[63:64], v[63:64], v[158:159]
	v_mul_f64_e32 v[158:159], s[52:53], v[120:121]
	scratch_load_b64 v[120:121], off, off offset:468 th:TH_LOAD_LU ; 8-byte Folded Reload
	v_fma_f64 v[178:179], v[226:227], s[20:21], v[158:159]
	s_delay_alu instid0(VALU_DEP_1) | instskip(SKIP_2) | instid1(VALU_DEP_2)
	v_add_f64_e32 v[63:64], v[178:179], v[63:64]
	v_fma_f64 v[178:179], v[237:238], s[10:11], -v[84:85]
	v_fma_f64 v[84:85], v[237:238], s[10:11], v[84:85]
	v_add_f64_e32 v[82:83], v[178:179], v[82:83]
	v_mul_f64_e32 v[178:179], s[16:17], v[122:123]
	s_delay_alu instid0(VALU_DEP_1) | instskip(NEXT) | instid1(VALU_DEP_1)
	v_fma_f64 v[80:81], v[235:236], s[10:11], v[178:179]
	v_add_f64_e32 v[63:64], v[80:81], v[63:64]
	v_fma_f64 v[80:81], v[245:246], s[30:31], -v[166:167]
	s_delay_alu instid0(VALU_DEP_1) | instskip(SKIP_1) | instid1(VALU_DEP_1)
	v_add_f64_e32 v[80:81], v[80:81], v[82:83]
	v_fma_f64 v[82:83], v[239:240], s[30:31], v[186:187]
	v_add_f64_e32 v[63:64], v[82:83], v[63:64]
	v_fma_f64 v[82:83], v[249:250], s[18:19], -v[88:89]
	s_delay_alu instid0(VALU_DEP_1) | instskip(SKIP_1) | instid1(VALU_DEP_1)
	v_add_f64_e32 v[82:83], v[82:83], v[80:81]
	v_fma_f64 v[80:81], v[247:248], s[18:19], v[86:87]
	v_add_f64_e32 v[80:81], v[80:81], v[63:64]
	v_fma_f64 v[63:64], v[214:215], s[22:23], v[180:181]
	v_fma_f64 v[180:181], v[212:213], s[22:23], -v[231:232]
	s_wait_loadcnt 0x0
	s_delay_alu instid0(VALU_DEP_2) | instskip(SKIP_3) | instid1(VALU_DEP_2)
	v_add_f64_e32 v[63:64], v[63:64], v[120:121]
	scratch_load_b64 v[120:121], off, off offset:460 th:TH_LOAD_LU ; 8-byte Folded Reload
	v_add_f64_e32 v[63:64], v[168:169], v[63:64]
	v_fma_f64 v[168:169], v[216:217], s[2:3], -v[243:244]
	v_add_f64_e32 v[63:64], v[176:177], v[63:64]
	v_fma_f64 v[176:177], v[220:221], s[28:29], -v[253:254]
	s_delay_alu instid0(VALU_DEP_2) | instskip(SKIP_1) | instid1(VALU_DEP_2)
	v_add_f64_e32 v[63:64], v[65:66], v[63:64]
	v_fma_f64 v[65:66], v[226:227], s[20:21], -v[158:159]
	v_add_f64_e32 v[63:64], v[84:85], v[63:64]
	v_fma_f64 v[84:85], v[235:236], s[10:11], -v[178:179]
	s_wait_loadcnt 0x0
	v_add_f64_e32 v[180:181], v[180:181], v[120:121]
	s_delay_alu instid0(VALU_DEP_1) | instskip(NEXT) | instid1(VALU_DEP_1)
	v_add_f64_e32 v[168:169], v[168:169], v[180:181]
	v_add_f64_e32 v[168:169], v[176:177], v[168:169]
	s_delay_alu instid0(VALU_DEP_1) | instskip(NEXT) | instid1(VALU_DEP_1)
	v_add_f64_e32 v[65:66], v[65:66], v[168:169]
	v_add_f64_e32 v[65:66], v[84:85], v[65:66]
	v_fma_f64 v[84:85], v[245:246], s[30:31], v[166:167]
	s_delay_alu instid0(VALU_DEP_1) | instskip(SKIP_1) | instid1(VALU_DEP_1)
	v_add_f64_e32 v[63:64], v[84:85], v[63:64]
	v_fma_f64 v[84:85], v[239:240], s[30:31], -v[186:187]
	v_add_f64_e32 v[65:66], v[84:85], v[65:66]
	v_fma_f64 v[84:85], v[249:250], s[18:19], v[88:89]
	v_fma_f64 v[88:89], v[247:248], s[18:19], -v[86:87]
	s_delay_alu instid0(VALU_DEP_2)
	v_add_f64_e32 v[86:87], v[84:85], v[63:64]
	scratch_load_b64 v[63:64], off, off offset:452 th:TH_LOAD_LU ; 8-byte Folded Reload
	v_add_f64_e32 v[84:85], v[88:89], v[65:66]
	scratch_load_b64 v[65:66], off, off offset:444 th:TH_LOAD_LU ; 8-byte Folded Reload
	s_wait_loadcnt 0x1
	v_add_f64_e32 v[53:54], v[53:54], v[63:64]
	v_fma_f64 v[63:64], v[212:213], s[28:29], -v[182:183]
	s_wait_loadcnt 0x0
	s_delay_alu instid0(VALU_DEP_1) | instskip(SKIP_1) | instid1(VALU_DEP_1)
	v_add_f64_e32 v[63:64], v[63:64], v[65:66]
	v_fma_f64 v[65:66], v[218:219], s[10:11], v[160:161]
	v_add_f64_e32 v[53:54], v[65:66], v[53:54]
	v_fma_f64 v[65:66], v[216:217], s[10:11], -v[174:175]
	s_delay_alu instid0(VALU_DEP_1) | instskip(SKIP_1) | instid1(VALU_DEP_1)
	v_add_f64_e32 v[63:64], v[65:66], v[63:64]
	v_fma_f64 v[65:66], v[224:225], s[18:19], v[162:163]
	v_add_f64_e32 v[53:54], v[65:66], v[53:54]
	v_fma_f64 v[65:66], v[220:221], s[18:19], -v[172:173]
	;; [unrolled: 5-line block ×4, first 2 shown]
	s_delay_alu instid0(VALU_DEP_2) | instskip(NEXT) | instid1(VALU_DEP_2)
	v_add_f64_e32 v[0:1], v[0:1], v[53:54]
	v_add_f64_e32 v[63:64], v[65:66], v[63:64]
	v_fma_f64 v[53:54], v[239:240], s[2:3], -v[90:91]
	s_delay_alu instid0(VALU_DEP_3) | instskip(SKIP_3) | instid1(VALU_DEP_2)
	v_add_f64_e32 v[90:91], v[59:60], v[0:1]
	scratch_load_b64 v[59:60], off, off offset:428 th:TH_LOAD_LU ; 8-byte Folded Reload
	v_add_f64_e32 v[53:54], v[53:54], v[63:64]
	v_fma_f64 v[0:1], v[214:215], s[30:31], v[156:157]
	v_add_f64_e32 v[88:89], v[61:62], v[53:54]
	scratch_load_b64 v[53:54], off, off offset:436 th:TH_LOAD_LU ; 8-byte Folded Reload
	s_wait_loadcnt 0x0
	v_add_f64_e32 v[0:1], v[0:1], v[53:54]
	v_fma_f64 v[53:54], v[212:213], s[30:31], -v[164:165]
	s_delay_alu instid0(VALU_DEP_1) | instskip(SKIP_1) | instid1(VALU_DEP_2)
	v_add_f64_e32 v[53:54], v[53:54], v[59:60]
	v_fma_f64 v[59:60], v[218:219], s[22:23], v[241:242]
	v_add_f64_e32 v[35:36], v[35:36], v[53:54]
	s_delay_alu instid0(VALU_DEP_2) | instskip(NEXT) | instid1(VALU_DEP_1)
	v_add_f64_e32 v[0:1], v[59:60], v[0:1]
	v_add_f64_e32 v[0:1], v[37:38], v[0:1]
	v_fma_f64 v[37:38], v[220:221], s[2:3], -v[39:40]
	v_fma_f64 v[39:40], v[247:248], s[10:11], -v[57:58]
	s_delay_alu instid0(VALU_DEP_2) | instskip(SKIP_1) | instid1(VALU_DEP_1)
	v_add_f64_e32 v[35:36], v[37:38], v[35:36]
	v_fma_f64 v[37:38], v[233:234], s[18:19], v[41:42]
	v_add_f64_e32 v[0:1], v[37:38], v[0:1]
	v_fma_f64 v[37:38], v[226:227], s[18:19], -v[43:44]
	s_delay_alu instid0(VALU_DEP_1) | instskip(SKIP_1) | instid1(VALU_DEP_1)
	v_add_f64_e32 v[35:36], v[37:38], v[35:36]
	v_fma_f64 v[37:38], v[237:238], s[28:29], v[45:46]
	v_add_f64_e32 v[0:1], v[37:38], v[0:1]
	v_fma_f64 v[37:38], v[235:236], s[28:29], -v[47:48]
	s_delay_alu instid0(VALU_DEP_1) | instskip(SKIP_1) | instid1(VALU_DEP_1)
	v_add_f64_e32 v[35:36], v[37:38], v[35:36]
	v_fma_f64 v[37:38], v[245:246], s[26:27], v[49:50]
	v_add_f64_e32 v[0:1], v[37:38], v[0:1]
	v_fma_f64 v[37:38], v[239:240], s[26:27], -v[51:52]
	v_dual_mov_b32 v48, v75 :: v_dual_mov_b32 v49, v76
	v_dual_mov_b32 v50, v77 :: v_dual_mov_b32 v51, v78
	;; [unrolled: 1-line block ×5, first 2 shown]
	v_add_f64_e32 v[35:36], v[37:38], v[35:36]
	v_fma_f64 v[37:38], v[249:250], s[10:11], v[55:56]
	v_dual_mov_b32 v56, v92 :: v_dual_mov_b32 v57, v93
	v_dual_mov_b32 v58, v94 :: v_dual_mov_b32 v59, v95
	v_mov_b32_e32 v92, v222
	v_mov_b32_e32 v222, v67
	v_dual_mov_b32 v64, v96 :: v_dual_mov_b32 v67, v99
	v_dual_mov_b32 v66, v98 :: v_dual_mov_b32 v65, v97
	v_add_f64_e32 v[156:157], v[39:40], v[35:36]
	v_add_f64_e32 v[158:159], v[37:38], v[0:1]
	s_clause 0x1
	scratch_load_b64 v[35:36], off, off offset:420 th:TH_LOAD_LU
	scratch_load_b64 v[37:38], off, off offset:412 th:TH_LOAD_LU
	v_fma_f64 v[0:1], v[214:215], s[26:27], v[10:11]
	v_fma_f64 v[10:11], v[212:213], s[26:27], -v[33:34]
	v_fma_f64 v[33:34], v[218:219], s[30:31], v[192:193]
	v_dual_mov_b32 v40, v71 :: v_dual_mov_b32 v41, v72
	v_dual_mov_b32 v42, v73 :: v_dual_mov_b32 v43, v74
	;; [unrolled: 1-line block ×6, first 2 shown]
	s_wait_loadcnt 0x1
	v_add_f64_e32 v[0:1], v[0:1], v[35:36]
	v_fma_f64 v[35:36], v[216:217], s[30:31], -v[194:195]
	s_wait_loadcnt 0x0
	v_add_f64_e32 v[10:11], v[10:11], v[37:38]
	v_fma_f64 v[37:38], v[224:225], s[22:23], v[196:197]
	s_delay_alu instid0(VALU_DEP_4) | instskip(SKIP_1) | instid1(VALU_DEP_4)
	v_add_f64_e32 v[0:1], v[33:34], v[0:1]
	v_fma_f64 v[33:34], v[220:221], s[22:23], -v[198:199]
	v_add_f64_e32 v[10:11], v[35:36], v[10:11]
	v_fma_f64 v[35:36], v[233:234], s[10:11], v[200:201]
	s_delay_alu instid0(VALU_DEP_4) | instskip(SKIP_1) | instid1(VALU_DEP_4)
	v_add_f64_e32 v[0:1], v[37:38], v[0:1]
	v_fma_f64 v[37:38], v[226:227], s[10:11], -v[202:203]
	;; [unrolled: 5-line block ×5, first 2 shown]
	v_add_f64_e32 v[10:11], v[33:34], v[10:11]
	v_dual_mov_b32 v229, v70 :: v_dual_mov_b32 v68, v100
	v_dual_mov_b32 v69, v101 :: v_dual_mov_b32 v70, v102
	;; [unrolled: 1-line block ×4, first 2 shown]
	v_mov_b32_e32 v103, v115
	v_add_f64_e32 v[162:163], v[35:36], v[0:1]
	v_mul_lo_u16 v0, v223, 17
	v_add_f64_e32 v[160:161], v[37:38], v[10:11]
	s_delay_alu instid0(VALU_DEP_2) | instskip(NEXT) | instid1(VALU_DEP_1)
	v_and_b32_e32 v0, 0xffff, v0
	v_lshl_add_u32 v0, v0, 4, v229
	ds_store_b128 v0, v[136:139]
	ds_store_b128 v0, v[17:20] offset:16
	ds_store_b128 v0, v[21:24] offset:32
	;; [unrolled: 1-line block ×16, first 2 shown]
.LBB0_17:
	s_wait_alu 0xfffe
	s_or_b32 exec_lo, exec_lo, s1
	global_wb scope:SCOPE_SE
	s_wait_storecnt_dscnt 0x0
	s_barrier_signal -1
	s_barrier_wait -1
	global_inv scope:SCOPE_SE
	ds_load_b128 v[152:155], v228
	ds_load_b128 v[148:151], v228 offset:1360
	ds_load_b128 v[192:195], v228 offset:8704
	;; [unrolled: 1-line block ×14, first 2 shown]
	s_and_saveexec_b32 s1, s0
	s_cbranch_execz .LBB0_19
; %bb.18:
	ds_load_b128 v[140:143], v228 offset:4080
	ds_load_b128 v[144:147], v228 offset:8432
	;; [unrolled: 1-line block ×5, first 2 shown]
	s_wait_dscnt 0x1
	scratch_store_b128 off, v[0:3], off     ; 16-byte Folded Spill
.LBB0_19:
	s_wait_alu 0xfffe
	s_or_b32 exec_lo, exec_lo, s1
	scratch_load_b128 v[2:5], off, off offset:16 th:TH_LOAD_LU ; 16-byte Folded Reload
	s_mov_b32 s14, 0x134454ff
	s_mov_b32 s15, 0xbfee6f0e
	;; [unrolled: 1-line block ×3, first 2 shown]
	s_wait_alu 0xfffe
	s_mov_b32 s16, s14
	s_mov_b32 s2, 0x4755a5e
	;; [unrolled: 1-line block ×4, first 2 shown]
	s_wait_alu 0xfffe
	s_mov_b32 s10, s2
	s_mov_b32 s18, 0x372fe950
	;; [unrolled: 1-line block ×3, first 2 shown]
	s_wait_dscnt 0x0
	v_mul_f64_e32 v[15:16], v[78:79], v[158:159]
	v_mul_f64_e32 v[18:19], v[78:79], v[156:157]
	s_delay_alu instid0(VALU_DEP_2) | instskip(NEXT) | instid1(VALU_DEP_2)
	v_fma_f64 v[16:17], v[76:77], v[156:157], v[15:16]
	v_fma_f64 v[18:19], v[76:77], v[158:159], -v[18:19]
	s_wait_loadcnt 0x0
	v_mul_f64_e32 v[0:1], v[4:5], v[202:203]
	s_delay_alu instid0(VALU_DEP_1) | instskip(SKIP_1) | instid1(VALU_DEP_1)
	v_fma_f64 v[13:14], v[2:3], v[200:201], v[0:1]
	v_mul_f64_e32 v[0:1], v[4:5], v[200:201]
	v_fma_f64 v[36:37], v[2:3], v[202:203], -v[0:1]
	scratch_load_b128 v[2:5], off, off offset:48 th:TH_LOAD_LU ; 16-byte Folded Reload
	s_wait_loadcnt 0x0
	v_mul_f64_e32 v[0:1], v[4:5], v[194:195]
	s_delay_alu instid0(VALU_DEP_1) | instskip(SKIP_1) | instid1(VALU_DEP_1)
	v_fma_f64 v[38:39], v[2:3], v[192:193], v[0:1]
	v_mul_f64_e32 v[0:1], v[4:5], v[192:193]
	v_fma_f64 v[44:45], v[2:3], v[194:195], -v[0:1]
	scratch_load_b128 v[2:5], off, off offset:64 th:TH_LOAD_LU ; 16-byte Folded Reload
	;; [unrolled: 7-line block ×4, first 2 shown]
	global_wb scope:SCOPE_SE
	s_wait_loadcnt 0x0
	s_wait_storecnt 0x0
	s_barrier_signal -1
	s_barrier_wait -1
	global_inv scope:SCOPE_SE
	v_add_f64_e64 v[62:63], v[44:45], -v[60:61]
	v_mul_f64_e32 v[0:1], v[4:5], v[186:187]
	s_delay_alu instid0(VALU_DEP_1) | instskip(SKIP_2) | instid1(VALU_DEP_2)
	v_fma_f64 v[20:21], v[2:3], v[184:185], v[0:1]
	v_mul_f64_e32 v[0:1], v[4:5], v[184:185]
	v_mul_f64_e32 v[4:5], v[66:67], v[166:167]
	v_fma_f64 v[22:23], v[2:3], v[186:187], -v[0:1]
	v_mul_f64_e32 v[0:1], v[42:43], v[178:179]
	s_delay_alu instid0(VALU_DEP_3)
	v_fma_f64 v[6:7], v[64:65], v[164:165], v[4:5]
	v_mul_f64_e32 v[4:5], v[66:67], v[164:165]
	v_mul_f64_e32 v[2:3], v[70:71], v[168:169]
	v_add_f64_e64 v[66:67], v[38:39], -v[54:55]
	v_fma_f64 v[26:27], v[40:41], v[176:177], v[0:1]
	v_mul_f64_e32 v[0:1], v[42:43], v[176:177]
	v_add_f64_e64 v[42:43], v[54:55], -v[46:47]
	v_fma_f64 v[10:11], v[64:65], v[166:167], -v[4:5]
	v_add_f64_e64 v[64:65], v[36:37], -v[52:53]
	v_fma_f64 v[2:3], v[68:69], v[170:171], -v[2:3]
	v_mul_f64_e32 v[4:5], v[74:75], v[162:163]
	v_fma_f64 v[30:31], v[40:41], v[178:179], -v[0:1]
	v_mul_f64_e32 v[0:1], v[50:51], v[182:183]
	v_add_f64_e64 v[40:41], v[38:39], -v[13:14]
	s_delay_alu instid0(VALU_DEP_4) | instskip(SKIP_1) | instid1(VALU_DEP_4)
	v_fma_f64 v[8:9], v[72:73], v[160:161], v[4:5]
	v_mul_f64_e32 v[4:5], v[74:75], v[160:161]
	v_fma_f64 v[28:29], v[48:49], v[180:181], v[0:1]
	v_mul_f64_e32 v[0:1], v[50:51], v[180:181]
	s_delay_alu instid0(VALU_DEP_3) | instskip(NEXT) | instid1(VALU_DEP_2)
	v_fma_f64 v[4:5], v[72:73], v[162:163], -v[4:5]
	v_fma_f64 v[24:25], v[48:49], v[182:183], -v[0:1]
	v_mul_f64_e32 v[0:1], v[58:59], v[174:175]
	v_add_f64_e32 v[48:49], v[40:41], v[42:43]
	v_add_f64_e64 v[40:41], v[44:45], -v[36:37]
	v_add_f64_e64 v[42:43], v[60:61], -v[52:53]
	s_delay_alu instid0(VALU_DEP_4) | instskip(SKIP_1) | instid1(VALU_DEP_3)
	v_fma_f64 v[32:33], v[56:57], v[172:173], v[0:1]
	v_mul_f64_e32 v[0:1], v[58:59], v[172:173]
	v_add_f64_e32 v[50:51], v[40:41], v[42:43]
	v_add_f64_e32 v[40:41], v[13:14], v[46:47]
	s_delay_alu instid0(VALU_DEP_3) | instskip(SKIP_1) | instid1(VALU_DEP_3)
	v_fma_f64 v[34:35], v[56:57], v[174:175], -v[0:1]
	v_mul_f64_e32 v[0:1], v[70:71], v[170:171]
	v_fma_f64 v[56:57], v[40:41], -0.5, v[152:153]
	v_add_f64_e32 v[40:41], v[36:37], v[52:53]
	s_delay_alu instid0(VALU_DEP_3) | instskip(SKIP_1) | instid1(VALU_DEP_3)
	v_fma_f64 v[0:1], v[68:69], v[168:169], v[0:1]
	v_add_f64_e64 v[68:69], v[13:14], -v[46:47]
	v_fma_f64 v[58:59], v[40:41], -0.5, v[154:155]
	v_fma_f64 v[40:41], v[62:63], s[16:17], v[56:57]
	v_fma_f64 v[56:57], v[62:63], s[14:15], v[56:57]
	s_delay_alu instid0(VALU_DEP_3) | instskip(NEXT) | instid1(VALU_DEP_3)
	v_fma_f64 v[42:43], v[66:67], s[14:15], v[58:59]
	v_fma_f64 v[40:41], v[64:65], s[2:3], v[40:41]
	s_wait_alu 0xfffe
	s_delay_alu instid0(VALU_DEP_3) | instskip(SKIP_1) | instid1(VALU_DEP_4)
	v_fma_f64 v[56:57], v[64:65], s[10:11], v[56:57]
	v_fma_f64 v[58:59], v[66:67], s[16:17], v[58:59]
	;; [unrolled: 1-line block ×3, first 2 shown]
	s_delay_alu instid0(VALU_DEP_4) | instskip(NEXT) | instid1(VALU_DEP_4)
	v_fma_f64 v[40:41], v[48:49], s[18:19], v[40:41]
	v_fma_f64 v[48:49], v[48:49], s[18:19], v[56:57]
	v_add_f64_e32 v[56:57], v[38:39], v[54:55]
	v_fma_f64 v[58:59], v[68:69], s[2:3], v[58:59]
	v_fma_f64 v[42:43], v[50:51], s[18:19], v[42:43]
	s_delay_alu instid0(VALU_DEP_3) | instskip(SKIP_1) | instid1(VALU_DEP_4)
	v_fma_f64 v[70:71], v[56:57], -0.5, v[152:153]
	v_add_f64_e32 v[56:57], v[44:45], v[60:61]
	v_fma_f64 v[50:51], v[50:51], s[18:19], v[58:59]
	v_add_f64_e32 v[58:59], v[154:155], v[36:37]
	v_add_f64_e64 v[36:37], v[36:37], -v[44:45]
	s_delay_alu instid0(VALU_DEP_4) | instskip(SKIP_2) | instid1(VALU_DEP_2)
	v_fma_f64 v[72:73], v[56:57], -0.5, v[154:155]
	v_add_f64_e32 v[56:57], v[152:153], v[13:14]
	v_add_f64_e64 v[13:14], v[13:14], -v[38:39]
	v_add_f64_e32 v[38:39], v[56:57], v[38:39]
	v_add_f64_e32 v[56:57], v[58:59], v[44:45]
	s_delay_alu instid0(VALU_DEP_2) | instskip(NEXT) | instid1(VALU_DEP_2)
	v_add_f64_e32 v[38:39], v[38:39], v[54:55]
	v_add_f64_e32 v[44:45], v[56:57], v[60:61]
	v_add_f64_e64 v[54:55], v[46:47], -v[54:55]
	s_delay_alu instid0(VALU_DEP_3) | instskip(NEXT) | instid1(VALU_DEP_3)
	v_add_f64_e32 v[56:57], v[38:39], v[46:47]
	v_add_f64_e32 v[58:59], v[44:45], v[52:53]
	v_add_f64_e64 v[38:39], v[52:53], -v[60:61]
	v_fma_f64 v[44:45], v[64:65], s[14:15], v[70:71]
	v_fma_f64 v[46:47], v[64:65], s[16:17], v[70:71]
	v_add_f64_e32 v[13:14], v[13:14], v[54:55]
	v_fma_f64 v[52:53], v[68:69], s[16:17], v[72:73]
	v_fma_f64 v[60:61], v[68:69], s[14:15], v[72:73]
	v_add_f64_e64 v[54:55], v[20:21], -v[32:33]
	v_add_f64_e32 v[36:37], v[36:37], v[38:39]
	v_fma_f64 v[38:39], v[62:63], s[2:3], v[44:45]
	v_fma_f64 v[44:45], v[62:63], s[10:11], v[46:47]
	v_add_f64_e64 v[62:63], v[0:1], -v[6:7]
	v_fma_f64 v[46:47], v[66:67], s[10:11], v[52:53]
	v_fma_f64 v[52:53], v[66:67], s[2:3], v[60:61]
	v_add_f64_e64 v[60:61], v[0:1], -v[16:17]
	v_fma_f64 v[64:65], v[13:14], s[18:19], v[38:39]
	v_fma_f64 v[68:69], v[13:14], s[18:19], v[44:45]
	scratch_load_b32 v13, off, off offset:160 th:TH_LOAD_LU ; 4-byte Folded Reload
	v_fma_f64 v[66:67], v[36:37], s[18:19], v[46:47]
	v_fma_f64 v[70:71], v[36:37], s[18:19], v[52:53]
	v_add_f64_e64 v[36:37], v[32:33], -v[28:29]
	v_add_f64_e64 v[38:39], v[34:35], -v[24:25]
	v_add_f64_e64 v[46:47], v[22:23], -v[34:35]
	v_add_f64_e64 v[52:53], v[30:31], -v[24:25]
	s_wait_loadcnt 0x0
	ds_store_b128 v13, v[56:59]
	ds_store_b128 v13, v[64:67] offset:272
	ds_store_b128 v13, v[40:43] offset:544
	;; [unrolled: 1-line block ×4, first 2 shown]
	v_add_f64_e64 v[13:14], v[20:21], -v[26:27]
	v_add_f64_e32 v[40:41], v[30:31], v[24:25]
	v_add_f64_e64 v[56:57], v[26:27], -v[28:29]
	v_add_f64_e64 v[58:59], v[26:27], -v[20:21]
	s_delay_alu instid0(VALU_DEP_4) | instskip(SKIP_2) | instid1(VALU_DEP_2)
	v_add_f64_e32 v[13:14], v[13:14], v[36:37]
	v_add_f64_e64 v[36:37], v[22:23], -v[30:31]
	v_fma_f64 v[44:45], v[40:41], -0.5, v[150:151]
	v_add_f64_e32 v[36:37], v[36:37], v[38:39]
	v_add_f64_e32 v[38:39], v[26:27], v[28:29]
	s_delay_alu instid0(VALU_DEP_3) | instskip(SKIP_1) | instid1(VALU_DEP_3)
	v_fma_f64 v[42:43], v[54:55], s[16:17], v[44:45]
	v_fma_f64 v[44:45], v[54:55], s[14:15], v[44:45]
	v_fma_f64 v[38:39], v[38:39], -0.5, v[148:149]
	s_delay_alu instid0(VALU_DEP_3) | instskip(NEXT) | instid1(VALU_DEP_3)
	v_fma_f64 v[42:43], v[56:57], s[10:11], v[42:43]
	v_fma_f64 v[44:45], v[56:57], s[2:3], v[44:45]
	s_delay_alu instid0(VALU_DEP_3) | instskip(SKIP_1) | instid1(VALU_DEP_3)
	v_fma_f64 v[40:41], v[46:47], s[14:15], v[38:39]
	v_fma_f64 v[38:39], v[46:47], s[16:17], v[38:39]
	;; [unrolled: 1-line block ×3, first 2 shown]
	v_add_f64_e32 v[44:45], v[150:151], v[22:23]
	v_fma_f64 v[42:43], v[36:37], s[18:19], v[42:43]
	v_add_f64_e32 v[36:37], v[22:23], v[34:35]
	v_fma_f64 v[40:41], v[52:53], s[2:3], v[40:41]
	v_fma_f64 v[38:39], v[52:53], s[10:11], v[38:39]
	s_delay_alu instid0(VALU_DEP_3) | instskip(NEXT) | instid1(VALU_DEP_3)
	v_fma_f64 v[36:37], v[36:37], -0.5, v[150:151]
	v_fma_f64 v[40:41], v[13:14], s[18:19], v[40:41]
	s_delay_alu instid0(VALU_DEP_3) | instskip(SKIP_2) | instid1(VALU_DEP_2)
	v_fma_f64 v[48:49], v[13:14], s[18:19], v[38:39]
	v_add_f64_e32 v[38:39], v[148:149], v[20:21]
	v_add_f64_e32 v[13:14], v[20:21], v[32:33]
	;; [unrolled: 1-line block ×4, first 2 shown]
	s_delay_alu instid0(VALU_DEP_3) | instskip(SKIP_1) | instid1(VALU_DEP_4)
	v_fma_f64 v[13:14], v[13:14], -0.5, v[148:149]
	v_add_f64_e64 v[30:31], v[30:31], -v[22:23]
	v_add_f64_e32 v[20:21], v[20:21], v[28:29]
	s_delay_alu instid0(VALU_DEP_4)
	v_add_f64_e32 v[22:23], v[26:27], v[24:25]
	v_add_f64_e64 v[26:27], v[28:29], -v[32:33]
	v_add_f64_e64 v[24:25], v[24:25], -v[34:35]
	v_fma_f64 v[28:29], v[52:53], s[16:17], v[13:14]
	v_fma_f64 v[13:14], v[52:53], s[14:15], v[13:14]
	v_add_f64_e64 v[52:53], v[2:3], -v[18:19]
	v_add_f64_e32 v[20:21], v[20:21], v[32:33]
	v_add_f64_e32 v[22:23], v[22:23], v[34:35]
	v_fma_f64 v[32:33], v[56:57], s[14:15], v[36:37]
	v_fma_f64 v[34:35], v[56:57], s[16:17], v[36:37]
	v_add_f64_e32 v[36:37], v[58:59], v[26:27]
	v_add_f64_e32 v[30:31], v[30:31], v[24:25]
	v_fma_f64 v[13:14], v[46:47], s[10:11], v[13:14]
	v_fma_f64 v[24:25], v[46:47], s[2:3], v[28:29]
	v_add_f64_e64 v[46:47], v[10:11], -v[4:5]
	v_fma_f64 v[26:27], v[54:55], s[10:11], v[32:33]
	v_fma_f64 v[32:33], v[54:55], s[2:3], v[34:35]
	v_add_f64_e64 v[34:35], v[4:5], -v[18:19]
	v_add_f64_e64 v[54:55], v[6:7], -v[8:9]
	v_fma_f64 v[28:29], v[36:37], s[18:19], v[13:14]
	v_add_f64_e64 v[13:14], v[6:7], -v[0:1]
	v_fma_f64 v[24:25], v[36:37], s[18:19], v[24:25]
	v_fma_f64 v[26:27], v[30:31], s[18:19], v[26:27]
	v_fma_f64 v[30:31], v[30:31], s[18:19], v[32:33]
	v_add_f64_e64 v[32:33], v[8:9], -v[16:17]
	s_delay_alu instid0(VALU_DEP_1) | instskip(SKIP_1) | instid1(VALU_DEP_1)
	v_add_f64_e32 v[13:14], v[13:14], v[32:33]
	v_add_f64_e64 v[32:33], v[10:11], -v[2:3]
	v_add_f64_e32 v[36:37], v[32:33], v[34:35]
	v_add_f64_e32 v[32:33], v[0:1], v[16:17]
	s_delay_alu instid0(VALU_DEP_1) | instskip(SKIP_1) | instid1(VALU_DEP_1)
	v_fma_f64 v[38:39], v[32:33], -0.5, v[136:137]
	v_add_f64_e32 v[32:33], v[2:3], v[18:19]
	v_fma_f64 v[44:45], v[32:33], -0.5, v[138:139]
	s_delay_alu instid0(VALU_DEP_3) | instskip(SKIP_1) | instid1(VALU_DEP_3)
	v_fma_f64 v[32:33], v[46:47], s[16:17], v[38:39]
	v_fma_f64 v[38:39], v[46:47], s[14:15], v[38:39]
	;; [unrolled: 1-line block ×4, first 2 shown]
	s_delay_alu instid0(VALU_DEP_3) | instskip(SKIP_1) | instid1(VALU_DEP_4)
	v_fma_f64 v[38:39], v[52:53], s[10:11], v[38:39]
	v_fma_f64 v[32:33], v[52:53], s[2:3], v[32:33]
	v_fma_f64 v[34:35], v[60:61], s[10:11], v[34:35]
	s_delay_alu instid0(VALU_DEP_4) | instskip(NEXT) | instid1(VALU_DEP_4)
	v_fma_f64 v[44:45], v[60:61], s[2:3], v[44:45]
	v_fma_f64 v[56:57], v[13:14], s[18:19], v[38:39]
	v_add_f64_e32 v[38:39], v[136:137], v[0:1]
	v_fma_f64 v[32:33], v[13:14], s[18:19], v[32:33]
	v_add_f64_e32 v[13:14], v[6:7], v[8:9]
	v_fma_f64 v[34:35], v[36:37], s[18:19], v[34:35]
	v_fma_f64 v[58:59], v[36:37], s[18:19], v[44:45]
	v_add_f64_e32 v[44:45], v[138:139], v[2:3]
	v_add_f64_e32 v[36:37], v[10:11], v[4:5]
	v_add_f64_e32 v[0:1], v[38:39], v[6:7]
	v_fma_f64 v[13:14], v[13:14], -0.5, v[136:137]
	s_delay_alu instid0(VALU_DEP_4) | instskip(NEXT) | instid1(VALU_DEP_4)
	v_add_f64_e32 v[6:7], v[44:45], v[10:11]
	v_fma_f64 v[36:37], v[36:37], -0.5, v[138:139]
	s_delay_alu instid0(VALU_DEP_4) | instskip(SKIP_1) | instid1(VALU_DEP_4)
	v_add_f64_e32 v[0:1], v[0:1], v[8:9]
	v_add_f64_e64 v[10:11], v[2:3], -v[10:11]
	v_add_f64_e32 v[2:3], v[6:7], v[4:5]
	v_add_f64_e64 v[6:7], v[16:17], -v[8:9]
	s_delay_alu instid0(VALU_DEP_4)
	v_add_f64_e32 v[0:1], v[0:1], v[16:17]
	v_add_f64_e64 v[4:5], v[18:19], -v[4:5]
	v_fma_f64 v[8:9], v[52:53], s[14:15], v[13:14]
	v_fma_f64 v[15:16], v[60:61], s[16:17], v[36:37]
	;; [unrolled: 1-line block ×3, first 2 shown]
	v_add_f64_e32 v[2:3], v[2:3], v[18:19]
	v_fma_f64 v[17:18], v[60:61], s[14:15], v[36:37]
	v_add_f64_e32 v[36:37], v[62:63], v[6:7]
	v_add_f64_e32 v[10:11], v[10:11], v[4:5]
	v_fma_f64 v[4:5], v[46:47], s[2:3], v[8:9]
	v_fma_f64 v[6:7], v[54:55], s[10:11], v[15:16]
	;; [unrolled: 1-line block ×4, first 2 shown]
	s_delay_alu instid0(VALU_DEP_4) | instskip(NEXT) | instid1(VALU_DEP_4)
	v_fma_f64 v[4:5], v[36:37], s[18:19], v[4:5]
	v_fma_f64 v[6:7], v[10:11], s[18:19], v[6:7]
	s_delay_alu instid0(VALU_DEP_4) | instskip(NEXT) | instid1(VALU_DEP_4)
	v_fma_f64 v[8:9], v[36:37], s[18:19], v[8:9]
	v_fma_f64 v[10:11], v[10:11], s[18:19], v[13:14]
	ds_store_b128 v252, v[20:23]
	ds_store_b128 v252, v[40:43] offset:272
	ds_store_b128 v252, v[24:27] offset:544
	;; [unrolled: 1-line block ×4, first 2 shown]
	ds_store_b128 v108, v[0:3]
	ds_store_b128 v108, v[4:7] offset:272
	ds_store_b128 v108, v[32:35] offset:544
	;; [unrolled: 1-line block ×4, first 2 shown]
	s_and_saveexec_b32 s1, s0
	s_cbranch_execz .LBB0_21
; %bb.20:
	s_clause 0x4
	scratch_load_b128 v[21:24], off, off offset:316 th:TH_LOAD_LU
	scratch_load_b128 v[17:20], off, off offset:300 th:TH_LOAD_LU
	;; [unrolled: 1-line block ×4, first 2 shown]
	scratch_load_b128 v[33:36], off, off th:TH_LOAD_LU
	s_wait_loadcnt 0x4
	v_mul_f64_e32 v[0:1], v[23:24], v[104:105]
	s_wait_loadcnt 0x3
	v_mul_f64_e32 v[2:3], v[19:20], v[144:145]
	;; [unrolled: 2-line block ×4, first 2 shown]
	v_mul_f64_e32 v[8:9], v[23:24], v[106:107]
	v_mul_f64_e32 v[10:11], v[27:28], v[35:36]
	;; [unrolled: 1-line block ×4, first 2 shown]
	v_fma_f64 v[0:1], v[21:22], v[106:107], -v[0:1]
	v_fma_f64 v[2:3], v[17:18], v[146:147], -v[2:3]
	;; [unrolled: 1-line block ×4, first 2 shown]
	v_fma_f64 v[8:9], v[21:22], v[104:105], v[8:9]
	v_fma_f64 v[10:11], v[25:26], v[33:34], v[10:11]
	;; [unrolled: 1-line block ×4, first 2 shown]
	v_add_f64_e32 v[29:30], v[142:143], v[2:3]
	v_add_f64_e32 v[17:18], v[2:3], v[4:5]
	;; [unrolled: 1-line block ×3, first 2 shown]
	v_add_f64_e64 v[33:34], v[2:3], -v[4:5]
	v_add_f64_e32 v[21:22], v[8:9], v[10:11]
	v_add_f64_e32 v[31:32], v[140:141], v[13:14]
	;; [unrolled: 1-line block ×3, first 2 shown]
	v_add_f64_e64 v[25:26], v[8:9], -v[10:11]
	v_add_f64_e64 v[27:28], v[13:14], -v[15:16]
	;; [unrolled: 1-line block ×11, first 2 shown]
	v_add_f64_e32 v[0:1], v[29:30], v[0:1]
	v_fma_f64 v[17:18], v[17:18], -0.5, v[142:143]
	v_fma_f64 v[19:20], v[19:20], -0.5, v[142:143]
	;; [unrolled: 1-line block ×3, first 2 shown]
	v_add_f64_e32 v[8:9], v[31:32], v[8:9]
	v_fma_f64 v[23:24], v[23:24], -0.5, v[140:141]
	v_add_f64_e32 v[37:38], v[37:38], v[39:40]
	v_add_f64_e32 v[39:40], v[2:3], v[41:42]
	;; [unrolled: 1-line block ×5, first 2 shown]
	v_fma_f64 v[29:30], v[25:26], s[16:17], v[17:18]
	v_fma_f64 v[17:18], v[25:26], s[14:15], v[17:18]
	;; [unrolled: 1-line block ×8, first 2 shown]
	v_add_f64_e32 v[6:7], v[8:9], v[10:11]
	v_add_f64_e32 v[2:3], v[0:1], v[4:5]
	v_fma_f64 v[8:9], v[27:28], s[2:3], v[29:30]
	v_fma_f64 v[10:11], v[27:28], s[10:11], v[17:18]
	;; [unrolled: 1-line block ×8, first 2 shown]
	v_add_f64_e32 v[0:1], v[6:7], v[15:16]
	v_fma_f64 v[6:7], v[37:38], s[18:19], v[8:9]
	v_fma_f64 v[10:11], v[37:38], s[18:19], v[10:11]
	;; [unrolled: 1-line block ×8, first 2 shown]
	v_lshl_add_u32 v21, v92, 4, v229
	ds_store_b128 v21, v[0:3] offset:20400
	ds_store_b128 v21, v[17:20] offset:20672
	;; [unrolled: 1-line block ×5, first 2 shown]
.LBB0_21:
	s_wait_alu 0xfffe
	s_or_b32 exec_lo, exec_lo, s1
	global_wb scope:SCOPE_SE
	s_wait_dscnt 0x0
	s_barrier_signal -1
	s_barrier_wait -1
	global_inv scope:SCOPE_SE
	ds_load_b128 v[0:3], v228 offset:1360
	ds_load_b128 v[4:7], v228 offset:2720
	;; [unrolled: 1-line block ×15, first 2 shown]
	s_clause 0x9
	scratch_load_b128 v[92:95], off, off offset:144 th:TH_LOAD_LU
	scratch_load_b128 v[152:155], off, off offset:128 th:TH_LOAD_LU
	scratch_load_b128 v[148:151], off, off offset:112 th:TH_LOAD_LU
	scratch_load_b128 v[144:147], off, off offset:96 th:TH_LOAD_LU
	scratch_load_b128 v[96:99], off, off offset:164 th:TH_LOAD_LU
	scratch_load_b128 v[100:103], off, off offset:180 th:TH_LOAD_LU
	scratch_load_b128 v[104:107], off, off offset:196 th:TH_LOAD_LU
	scratch_load_b128 v[108:111], off, off offset:212 th:TH_LOAD_LU
	scratch_load_b128 v[112:115], off, off offset:228 th:TH_LOAD_LU
	scratch_load_b128 v[116:119], off, off offset:244 th:TH_LOAD_LU
	s_mov_b32 s0, 0x667f3bcd
	s_mov_b32 s1, 0xbfe6a09e
	;; [unrolled: 1-line block ×3, first 2 shown]
	s_wait_alu 0xfffe
	s_mov_b32 s2, s0
	s_mov_b32 s10, 0xcf328d46
	s_wait_dscnt 0x4
	v_mul_f64_e32 v[140:141], v[130:131], v[58:59]
	v_mul_f64_e32 v[130:131], v[130:131], v[56:57]
	s_wait_dscnt 0x2
	v_mul_f64_e32 v[138:139], v[126:127], v[70:71]
	v_mul_f64_e32 v[126:127], v[126:127], v[68:69]
	;; [unrolled: 3-line block ×3, first 2 shown]
	s_mov_b32 s11, 0xbfed906b
	s_mov_b32 s19, 0x3fed906b
	s_wait_alu 0xfffe
	s_mov_b32 s18, s10
	s_mov_b32 s14, 0xa6aea964
	s_mov_b32 s15, 0x3fd87de2
	s_mov_b32 s17, 0xbfd87de2
	s_wait_alu 0xfffe
	s_mov_b32 s16, s14
	scratch_load_b128 v[120:123], off, off offset:276 th:TH_LOAD_LU ; 16-byte Folded Reload
	v_fma_f64 v[56:57], v[128:129], v[56:57], v[140:141]
	v_fma_f64 v[58:59], v[128:129], v[58:59], -v[130:131]
	s_wait_loadcnt 0xa
	v_mul_f64_e32 v[33:34], v[94:95], v[2:3]
	s_wait_loadcnt 0x9
	v_mul_f64_e32 v[37:38], v[154:155], v[6:7]
	v_mul_f64_e32 v[44:45], v[154:155], v[4:5]
	scratch_load_b128 v[154:157], off, off offset:260 th:TH_LOAD_LU ; 16-byte Folded Reload
	v_mul_f64_e32 v[35:36], v[94:95], v[0:1]
	s_wait_loadcnt 0x9
	v_mul_f64_e32 v[46:47], v[150:151], v[10:11]
	v_mul_f64_e32 v[52:53], v[150:151], v[8:9]
	s_wait_loadcnt 0x8
	v_mul_f64_e32 v[54:55], v[146:147], v[15:16]
	;; [unrolled: 3-line block ×9, first 2 shown]
	v_mul_f64_e32 v[122:123], v[122:123], v[40:41]
	v_fma_f64 v[33:34], v[92:93], v[0:1], v[33:34]
	v_fma_f64 v[4:5], v[152:153], v[4:5], v[37:38]
	v_fma_f64 v[6:7], v[152:153], v[6:7], -v[44:45]
	v_fma_f64 v[35:36], v[92:93], v[2:3], -v[35:36]
	v_fma_f64 v[8:9], v[148:149], v[8:9], v[46:47]
	v_fma_f64 v[10:11], v[148:149], v[10:11], -v[52:53]
	v_fma_f64 v[13:14], v[144:145], v[13:14], v[54:55]
	v_fma_f64 v[15:16], v[144:145], v[15:16], -v[60:61]
	v_fma_f64 v[17:18], v[96:97], v[17:18], v[62:63]
	v_fma_f64 v[19:20], v[96:97], v[19:20], -v[80:81]
	v_fma_f64 v[21:22], v[100:101], v[21:22], v[82:83]
	v_fma_f64 v[23:24], v[100:101], v[23:24], -v[84:85]
	v_fma_f64 v[25:26], v[104:105], v[25:26], v[86:87]
	v_fma_f64 v[27:28], v[104:105], v[27:28], -v[88:89]
	v_fma_f64 v[29:30], v[108:109], v[29:30], v[90:91]
	v_fma_f64 v[31:32], v[108:109], v[31:32], -v[94:95]
	v_fma_f64 v[37:38], v[112:113], v[64:65], v[98:99]
	v_fma_f64 v[44:45], v[112:113], v[66:67], -v[102:103]
	v_fma_f64 v[46:47], v[116:117], v[48:49], v[106:107]
	v_fma_f64 v[48:49], v[116:117], v[50:51], -v[110:111]
	v_fma_f64 v[54:55], v[124:125], v[68:69], v[138:139]
	v_fma_f64 v[60:61], v[124:125], v[70:71], -v[126:127]
	v_fma_f64 v[62:63], v[132:133], v[78:79], -v[142:143]
	v_fma_f64 v[64:65], v[132:133], v[76:77], v[134:135]
	ds_load_b128 v[0:3], v228
	v_fma_f64 v[39:40], v[120:121], v[40:41], v[136:137]
	v_fma_f64 v[41:42], v[120:121], v[42:43], -v[122:123]
	s_wait_dscnt 0x0
	v_add_f64_e64 v[29:30], v[0:1], -v[29:30]
	v_add_f64_e64 v[31:32], v[2:3], -v[31:32]
	;; [unrolled: 1-line block ×11, first 2 shown]
	v_fma_f64 v[0:1], v[0:1], 2.0, -v[29:30]
	v_fma_f64 v[2:3], v[2:3], 2.0, -v[31:32]
	v_add_f64_e64 v[68:69], v[31:32], -v[37:38]
	v_add_f64_e32 v[66:67], v[29:30], v[43:44]
	v_fma_f64 v[13:14], v[13:14], 2.0, -v[37:38]
	v_fma_f64 v[15:16], v[15:16], 2.0, -v[43:44]
	;; [unrolled: 1-line block ×11, first 2 shown]
	v_add_f64_e64 v[13:14], v[0:1], -v[13:14]
	v_add_f64_e64 v[15:16], v[2:3], -v[15:16]
	;; [unrolled: 1-line block ×3, first 2 shown]
	s_delay_alu instid0(VALU_DEP_3) | instskip(NEXT) | instid1(VALU_DEP_3)
	v_fma_f64 v[0:1], v[0:1], 2.0, -v[13:14]
	v_fma_f64 v[2:3], v[2:3], 2.0, -v[15:16]
	s_delay_alu instid0(VALU_DEP_3) | instskip(SKIP_3) | instid1(VALU_DEP_2)
	v_fma_f64 v[35:36], v[35:36], 2.0, -v[19:20]
	s_wait_loadcnt 0x0
	v_mul_f64_e32 v[114:115], v[156:157], v[74:75]
	v_mul_f64_e32 v[118:119], v[156:157], v[72:73]
	v_fma_f64 v[50:51], v[154:155], v[72:73], v[114:115]
	s_delay_alu instid0(VALU_DEP_2) | instskip(SKIP_1) | instid1(VALU_DEP_3)
	v_fma_f64 v[52:53], v[154:155], v[74:75], -v[118:119]
	v_add_f64_e32 v[74:75], v[39:40], v[60:61]
	v_add_f64_e64 v[49:50], v[21:22], -v[50:51]
	s_delay_alu instid0(VALU_DEP_3)
	v_add_f64_e64 v[51:52], v[23:24], -v[52:53]
	v_add_f64_e64 v[53:54], v[17:18], -v[54:55]
	;; [unrolled: 1-line block ×4, first 2 shown]
	v_fma_f64 v[39:40], v[39:40], 2.0, -v[74:75]
	v_add_f64_e64 v[72:73], v[47:48], -v[49:50]
	v_add_f64_e32 v[70:71], v[45:46], v[51:52]
	v_add_f64_e64 v[76:77], v[41:42], -v[53:54]
	v_add_f64_e32 v[78:79], v[55:56], v[62:63]
	v_add_f64_e64 v[80:81], v[57:58], -v[64:65]
	v_fma_f64 v[21:22], v[21:22], 2.0, -v[49:50]
	v_fma_f64 v[23:24], v[23:24], 2.0, -v[51:52]
	;; [unrolled: 1-line block ×10, first 2 shown]
	v_add_f64_e64 v[21:22], v[4:5], -v[21:22]
	v_add_f64_e64 v[23:24], v[6:7], -v[23:24]
	v_add_f64_e64 v[17:18], v[33:34], -v[17:18]
	v_add_f64_e64 v[25:26], v[8:9], -v[25:26]
	v_add_f64_e64 v[27:28], v[10:11], -v[27:28]
	v_fma_f64 v[49:50], v[70:71], s[2:3], v[66:67]
	v_fma_f64 v[51:52], v[72:73], s[2:3], v[68:69]
	;; [unrolled: 1-line block ×8, first 2 shown]
	v_fma_f64 v[4:5], v[4:5], 2.0, -v[21:22]
	v_fma_f64 v[6:7], v[6:7], 2.0, -v[23:24]
	v_add_f64_e32 v[82:83], v[13:14], v[23:24]
	v_add_f64_e64 v[84:85], v[15:16], -v[21:22]
	v_add_f64_e32 v[21:22], v[17:18], v[27:28]
	v_add_f64_e64 v[23:24], v[19:20], -v[25:26]
	v_fma_f64 v[49:50], v[72:73], s[2:3], v[49:50]
	v_fma_f64 v[51:52], v[70:71], s[0:1], v[51:52]
	;; [unrolled: 1-line block ×4, first 2 shown]
	v_fma_f64 v[33:34], v[33:34], 2.0, -v[17:18]
	v_fma_f64 v[8:9], v[8:9], 2.0, -v[25:26]
	;; [unrolled: 1-line block ×3, first 2 shown]
	v_fma_f64 v[59:60], v[37:38], s[0:1], v[59:60]
	v_fma_f64 v[57:58], v[43:44], s[2:3], v[57:58]
	;; [unrolled: 1-line block ×4, first 2 shown]
	v_add_f64_e64 v[43:44], v[0:1], -v[4:5]
	v_add_f64_e64 v[45:46], v[2:3], -v[6:7]
	v_fma_f64 v[47:48], v[13:14], 2.0, -v[82:83]
	v_fma_f64 v[61:62], v[15:16], 2.0, -v[84:85]
	;; [unrolled: 1-line block ×8, first 2 shown]
	v_fma_f64 v[4:5], v[21:22], s[2:3], v[82:83]
	v_add_f64_e64 v[37:38], v[33:34], -v[8:9]
	v_add_f64_e64 v[8:9], v[35:36], -v[10:11]
	v_fma_f64 v[6:7], v[23:24], s[2:3], v[84:85]
	v_fma_f64 v[10:11], v[53:54], s[18:19], v[49:50]
	v_fma_f64 v[69:70], v[31:32], 2.0, -v[59:60]
	v_fma_f64 v[67:68], v[29:30], 2.0, -v[57:58]
	;; [unrolled: 1-line block ×4, first 2 shown]
	v_fma_f64 v[39:40], v[55:56], s[18:19], v[51:52]
	v_fma_f64 v[86:87], v[25:26], s[14:15], v[57:58]
	;; [unrolled: 1-line block ×3, first 2 shown]
	v_fma_f64 v[71:72], v[0:1], 2.0, -v[43:44]
	v_fma_f64 v[41:42], v[15:16], s[0:1], v[47:48]
	v_fma_f64 v[75:76], v[13:14], s[0:1], v[61:62]
	v_fma_f64 v[73:74], v[2:3], 2.0, -v[45:46]
	s_wait_alu 0xfffe
	v_fma_f64 v[77:78], v[19:20], s[16:17], v[63:64]
	v_fma_f64 v[79:80], v[17:18], s[16:17], v[65:66]
	;; [unrolled: 1-line block ×3, first 2 shown]
	v_fma_f64 v[33:34], v[33:34], 2.0, -v[37:38]
	v_fma_f64 v[35:36], v[35:36], 2.0, -v[8:9]
	v_fma_f64 v[2:3], v[21:22], s[0:1], v[6:7]
	v_fma_f64 v[4:5], v[55:56], s[14:15], v[10:11]
	v_add_f64_e32 v[8:9], v[43:44], v[8:9]
	v_add_f64_e64 v[10:11], v[45:46], -v[37:38]
	v_fma_f64 v[90:91], v[31:32], s[10:11], v[67:68]
	v_fma_f64 v[92:93], v[29:30], s[10:11], v[69:70]
	;; [unrolled: 1-line block ×9, first 2 shown]
	v_add_f64_e64 v[25:26], v[71:72], -v[33:34]
	v_add_f64_e64 v[27:28], v[73:74], -v[35:36]
	v_fma_f64 v[33:34], v[82:83], 2.0, -v[0:1]
	v_fma_f64 v[35:36], v[84:85], 2.0, -v[2:3]
	;; [unrolled: 1-line block ×5, first 2 shown]
	v_fma_f64 v[29:30], v[29:30], s[14:15], v[90:91]
	v_fma_f64 v[31:32], v[31:32], s[16:17], v[92:93]
	v_fma_f64 v[39:40], v[51:52], 2.0, -v[6:7]
	v_fma_f64 v[53:54], v[57:58], 2.0, -v[21:22]
	;; [unrolled: 1-line block ×11, first 2 shown]
	ds_store_b128 v12, v[0:3] offset:19040
	ds_store_b128 v12, v[4:7] offset:20400
	;; [unrolled: 1-line block ×14, first 2 shown]
	ds_store_b128 v12, v[57:60]
	ds_store_b128 v12, v[61:64] offset:1360
	global_wb scope:SCOPE_SE
	s_wait_dscnt 0x0
	s_barrier_signal -1
	s_barrier_wait -1
	global_inv scope:SCOPE_SE
	s_and_b32 exec_lo, exec_lo, vcc_lo
	s_cbranch_execz .LBB0_23
; %bb.22:
	global_load_b128 v[0:3], v255, s[8:9]
	ds_load_b128 v[4:7], v12
	ds_load_b128 v[8:11], v12 offset:1280
	s_mov_b32 s0, 0x18181818
	s_mov_b32 s1, 0x3f481818
	s_mul_u64 s[2:3], s[4:5], 0x500
	s_wait_loadcnt_dscnt 0x1
	v_mul_f64_e32 v[13:14], v[6:7], v[2:3]
	v_mul_f64_e32 v[2:3], v[4:5], v[2:3]
	s_delay_alu instid0(VALU_DEP_2) | instskip(NEXT) | instid1(VALU_DEP_2)
	v_fma_f64 v[4:5], v[4:5], v[0:1], v[13:14]
	v_fma_f64 v[0:1], v[0:1], v[6:7], -v[2:3]
	v_mad_co_u64_u32 v[6:7], null, s6, v222, 0
	v_mad_co_u64_u32 v[13:14], null, s4, v223, 0
	s_wait_alu 0xfffe
	s_delay_alu instid0(VALU_DEP_4) | instskip(NEXT) | instid1(VALU_DEP_4)
	v_mul_f64_e32 v[2:3], s[0:1], v[4:5]
	v_mul_f64_e32 v[4:5], s[0:1], v[0:1]
	s_delay_alu instid0(VALU_DEP_3) | instskip(NEXT) | instid1(VALU_DEP_1)
	v_dual_mov_b32 v0, v7 :: v_dual_mov_b32 v1, v14
	v_mad_co_u64_u32 v[14:15], null, s7, v222, v[0:1]
	s_delay_alu instid0(VALU_DEP_4) | instskip(NEXT) | instid1(VALU_DEP_1)
	v_mad_co_u64_u32 v[0:1], null, s5, v223, v[1:2]
	v_dual_mov_b32 v7, v14 :: v_dual_mov_b32 v14, v0
	s_delay_alu instid0(VALU_DEP_1) | instskip(NEXT) | instid1(VALU_DEP_2)
	v_lshlrev_b64_e32 v[0:1], 4, v[6:7]
	v_lshlrev_b64_e32 v[6:7], 4, v[13:14]
	s_delay_alu instid0(VALU_DEP_2) | instskip(NEXT) | instid1(VALU_DEP_3)
	v_add_co_u32 v0, vcc_lo, s12, v0
	v_add_co_ci_u32_e32 v1, vcc_lo, s13, v1, vcc_lo
	s_delay_alu instid0(VALU_DEP_2) | instskip(SKIP_1) | instid1(VALU_DEP_2)
	v_add_co_u32 v6, vcc_lo, v0, v6
	s_wait_alu 0xfffd
	v_add_co_ci_u32_e32 v7, vcc_lo, v1, v7, vcc_lo
	global_store_b128 v[6:7], v[2:5], off
	global_load_b128 v[2:5], v255, s[8:9] offset:1280
	s_wait_loadcnt_dscnt 0x0
	v_mul_f64_e32 v[13:14], v[10:11], v[4:5]
	v_mul_f64_e32 v[4:5], v[8:9], v[4:5]
	s_delay_alu instid0(VALU_DEP_2) | instskip(NEXT) | instid1(VALU_DEP_2)
	v_fma_f64 v[8:9], v[8:9], v[2:3], v[13:14]
	v_fma_f64 v[4:5], v[2:3], v[10:11], -v[4:5]
	v_add_co_u32 v10, vcc_lo, v6, s2
	s_wait_alu 0xfffd
	v_add_co_ci_u32_e32 v11, vcc_lo, s3, v7, vcc_lo
	s_delay_alu instid0(VALU_DEP_4) | instskip(NEXT) | instid1(VALU_DEP_4)
	v_mul_f64_e32 v[2:3], s[0:1], v[8:9]
	v_mul_f64_e32 v[4:5], s[0:1], v[4:5]
	global_store_b128 v[10:11], v[2:5], off
	global_load_b128 v[2:5], v255, s[8:9] offset:2560
	ds_load_b128 v[6:9], v12 offset:2560
	ds_load_b128 v[13:16], v12 offset:3840
	s_wait_loadcnt_dscnt 0x1
	v_mul_f64_e32 v[17:18], v[8:9], v[4:5]
	v_mul_f64_e32 v[4:5], v[6:7], v[4:5]
	s_delay_alu instid0(VALU_DEP_2) | instskip(NEXT) | instid1(VALU_DEP_2)
	v_fma_f64 v[6:7], v[6:7], v[2:3], v[17:18]
	v_fma_f64 v[4:5], v[2:3], v[8:9], -v[4:5]
	s_delay_alu instid0(VALU_DEP_2) | instskip(NEXT) | instid1(VALU_DEP_2)
	v_mul_f64_e32 v[2:3], s[0:1], v[6:7]
	v_mul_f64_e32 v[4:5], s[0:1], v[4:5]
	v_add_co_u32 v6, vcc_lo, v10, s2
	s_wait_alu 0xfffd
	v_add_co_ci_u32_e32 v7, vcc_lo, s3, v11, vcc_lo
	s_delay_alu instid0(VALU_DEP_2) | instskip(SKIP_1) | instid1(VALU_DEP_2)
	v_add_co_u32 v10, vcc_lo, v6, s2
	s_wait_alu 0xfffd
	v_add_co_ci_u32_e32 v11, vcc_lo, s3, v7, vcc_lo
	global_store_b128 v[6:7], v[2:5], off
	global_load_b128 v[2:5], v255, s[8:9] offset:3840
	s_wait_loadcnt_dscnt 0x0
	v_mul_f64_e32 v[8:9], v[15:16], v[4:5]
	v_mul_f64_e32 v[4:5], v[13:14], v[4:5]
	s_delay_alu instid0(VALU_DEP_2) | instskip(NEXT) | instid1(VALU_DEP_2)
	v_fma_f64 v[8:9], v[13:14], v[2:3], v[8:9]
	v_fma_f64 v[4:5], v[2:3], v[15:16], -v[4:5]
	s_delay_alu instid0(VALU_DEP_2) | instskip(NEXT) | instid1(VALU_DEP_2)
	v_mul_f64_e32 v[2:3], s[0:1], v[8:9]
	v_mul_f64_e32 v[4:5], s[0:1], v[4:5]
	global_store_b128 v[10:11], v[2:5], off
	global_load_b128 v[2:5], v255, s[8:9] offset:5120
	ds_load_b128 v[6:9], v12 offset:5120
	ds_load_b128 v[13:16], v12 offset:6400
	s_wait_loadcnt_dscnt 0x1
	v_mul_f64_e32 v[17:18], v[8:9], v[4:5]
	v_mul_f64_e32 v[4:5], v[6:7], v[4:5]
	s_delay_alu instid0(VALU_DEP_2) | instskip(NEXT) | instid1(VALU_DEP_2)
	v_fma_f64 v[6:7], v[6:7], v[2:3], v[17:18]
	v_fma_f64 v[4:5], v[2:3], v[8:9], -v[4:5]
	s_delay_alu instid0(VALU_DEP_2) | instskip(NEXT) | instid1(VALU_DEP_2)
	v_mul_f64_e32 v[2:3], s[0:1], v[6:7]
	v_mul_f64_e32 v[4:5], s[0:1], v[4:5]
	v_add_co_u32 v6, vcc_lo, v10, s2
	s_wait_alu 0xfffd
	v_add_co_ci_u32_e32 v7, vcc_lo, s3, v11, vcc_lo
	s_delay_alu instid0(VALU_DEP_2) | instskip(SKIP_1) | instid1(VALU_DEP_2)
	v_add_co_u32 v10, vcc_lo, v6, s2
	s_wait_alu 0xfffd
	v_add_co_ci_u32_e32 v11, vcc_lo, s3, v7, vcc_lo
	global_store_b128 v[6:7], v[2:5], off
	global_load_b128 v[2:5], v255, s[8:9] offset:6400
	s_wait_loadcnt_dscnt 0x0
	v_mul_f64_e32 v[8:9], v[15:16], v[4:5]
	v_mul_f64_e32 v[4:5], v[13:14], v[4:5]
	s_delay_alu instid0(VALU_DEP_2) | instskip(NEXT) | instid1(VALU_DEP_2)
	v_fma_f64 v[8:9], v[13:14], v[2:3], v[8:9]
	v_fma_f64 v[4:5], v[2:3], v[15:16], -v[4:5]
	s_delay_alu instid0(VALU_DEP_2) | instskip(NEXT) | instid1(VALU_DEP_2)
	;; [unrolled: 31-line block ×3, first 2 shown]
	v_mul_f64_e32 v[2:3], s[0:1], v[8:9]
	v_mul_f64_e32 v[4:5], s[0:1], v[4:5]
	global_store_b128 v[10:11], v[2:5], off
	global_load_b128 v[2:5], v255, s[8:9] offset:10240
	ds_load_b128 v[6:9], v12 offset:10240
	ds_load_b128 v[13:16], v12 offset:11520
	v_mad_co_u64_u32 v[10:11], null, 0xa00, s4, v[10:11]
	s_wait_loadcnt_dscnt 0x1
	v_mul_f64_e32 v[17:18], v[8:9], v[4:5]
	v_mul_f64_e32 v[4:5], v[6:7], v[4:5]
	s_delay_alu instid0(VALU_DEP_2) | instskip(SKIP_3) | instid1(VALU_DEP_2)
	v_fma_f64 v[6:7], v[6:7], v[2:3], v[17:18]
	scratch_load_b32 v17, off, off offset:296 th:TH_LOAD_LU ; 4-byte Folded Reload
	v_fma_f64 v[4:5], v[2:3], v[8:9], -v[4:5]
	v_mul_f64_e32 v[2:3], s[0:1], v[6:7]
	v_mul_f64_e32 v[4:5], s[0:1], v[4:5]
	s_wait_loadcnt 0x0
	v_mad_co_u64_u32 v[8:9], null, s4, v17, 0
	s_delay_alu instid0(VALU_DEP_1) | instskip(NEXT) | instid1(VALU_DEP_1)
	v_mov_b32_e32 v6, v9
	v_mad_co_u64_u32 v[6:7], null, s5, v17, v[6:7]
	s_delay_alu instid0(VALU_DEP_1) | instskip(NEXT) | instid1(VALU_DEP_1)
	v_mov_b32_e32 v9, v6
	v_lshlrev_b64_e32 v[6:7], 4, v[8:9]
	s_delay_alu instid0(VALU_DEP_1) | instskip(SKIP_1) | instid1(VALU_DEP_2)
	v_add_co_u32 v6, vcc_lo, v0, v6
	s_wait_alu 0xfffd
	v_add_co_ci_u32_e32 v7, vcc_lo, v1, v7, vcc_lo
	global_store_b128 v[6:7], v[2:5], off
	global_load_b128 v[2:5], v255, s[8:9] offset:11520
	s_wait_loadcnt_dscnt 0x0
	v_mul_f64_e32 v[6:7], v[15:16], v[4:5]
	v_mul_f64_e32 v[4:5], v[13:14], v[4:5]
	s_delay_alu instid0(VALU_DEP_2) | instskip(NEXT) | instid1(VALU_DEP_2)
	v_fma_f64 v[6:7], v[13:14], v[2:3], v[6:7]
	v_fma_f64 v[4:5], v[2:3], v[15:16], -v[4:5]
	s_delay_alu instid0(VALU_DEP_2) | instskip(SKIP_1) | instid1(VALU_DEP_3)
	v_mul_f64_e32 v[2:3], s[0:1], v[6:7]
	v_mov_b32_e32 v6, v11
	v_mul_f64_e32 v[4:5], s[0:1], v[4:5]
	s_delay_alu instid0(VALU_DEP_2) | instskip(NEXT) | instid1(VALU_DEP_1)
	v_mad_co_u64_u32 v[6:7], null, 0xa00, s5, v[6:7]
	v_mov_b32_e32 v11, v6
	global_store_b128 v[10:11], v[2:5], off
	global_load_b128 v[2:5], v255, s[8:9] offset:12800
	ds_load_b128 v[6:9], v12 offset:12800
	ds_load_b128 v[13:16], v12 offset:14080
	s_wait_loadcnt_dscnt 0x1
	v_mul_f64_e32 v[17:18], v[8:9], v[4:5]
	v_mul_f64_e32 v[4:5], v[6:7], v[4:5]
	s_delay_alu instid0(VALU_DEP_2) | instskip(NEXT) | instid1(VALU_DEP_2)
	v_fma_f64 v[6:7], v[6:7], v[2:3], v[17:18]
	v_fma_f64 v[4:5], v[2:3], v[8:9], -v[4:5]
	s_delay_alu instid0(VALU_DEP_2) | instskip(NEXT) | instid1(VALU_DEP_2)
	v_mul_f64_e32 v[2:3], s[0:1], v[6:7]
	v_mul_f64_e32 v[4:5], s[0:1], v[4:5]
	v_add_co_u32 v6, vcc_lo, v10, s2
	s_wait_alu 0xfffd
	v_add_co_ci_u32_e32 v7, vcc_lo, s3, v11, vcc_lo
	s_delay_alu instid0(VALU_DEP_2) | instskip(SKIP_1) | instid1(VALU_DEP_2)
	v_add_co_u32 v10, vcc_lo, v6, s2
	s_wait_alu 0xfffd
	v_add_co_ci_u32_e32 v11, vcc_lo, s3, v7, vcc_lo
	global_store_b128 v[6:7], v[2:5], off
	global_load_b128 v[2:5], v255, s[8:9] offset:14080
	s_wait_loadcnt_dscnt 0x0
	v_mul_f64_e32 v[8:9], v[15:16], v[4:5]
	v_mul_f64_e32 v[4:5], v[13:14], v[4:5]
	s_delay_alu instid0(VALU_DEP_2) | instskip(NEXT) | instid1(VALU_DEP_2)
	v_fma_f64 v[8:9], v[13:14], v[2:3], v[8:9]
	v_fma_f64 v[4:5], v[2:3], v[15:16], -v[4:5]
	s_delay_alu instid0(VALU_DEP_2) | instskip(NEXT) | instid1(VALU_DEP_2)
	v_mul_f64_e32 v[2:3], s[0:1], v[8:9]
	v_mul_f64_e32 v[4:5], s[0:1], v[4:5]
	global_store_b128 v[10:11], v[2:5], off
	global_load_b128 v[2:5], v255, s[8:9] offset:15360
	ds_load_b128 v[6:9], v12 offset:15360
	ds_load_b128 v[13:16], v12 offset:16640
	s_wait_loadcnt_dscnt 0x1
	v_mul_f64_e32 v[17:18], v[8:9], v[4:5]
	v_mul_f64_e32 v[4:5], v[6:7], v[4:5]
	s_delay_alu instid0(VALU_DEP_2) | instskip(NEXT) | instid1(VALU_DEP_2)
	v_fma_f64 v[6:7], v[6:7], v[2:3], v[17:18]
	v_fma_f64 v[4:5], v[2:3], v[8:9], -v[4:5]
	s_delay_alu instid0(VALU_DEP_2) | instskip(NEXT) | instid1(VALU_DEP_2)
	v_mul_f64_e32 v[2:3], s[0:1], v[6:7]
	v_mul_f64_e32 v[4:5], s[0:1], v[4:5]
	v_add_co_u32 v6, vcc_lo, v10, s2
	s_wait_alu 0xfffd
	v_add_co_ci_u32_e32 v7, vcc_lo, s3, v11, vcc_lo
	s_delay_alu instid0(VALU_DEP_2) | instskip(SKIP_1) | instid1(VALU_DEP_2)
	v_add_co_u32 v10, vcc_lo, v6, s2
	s_wait_alu 0xfffd
	v_add_co_ci_u32_e32 v11, vcc_lo, s3, v7, vcc_lo
	global_store_b128 v[6:7], v[2:5], off
	global_load_b128 v[2:5], v255, s[8:9] offset:16640
	s_wait_loadcnt_dscnt 0x0
	v_mul_f64_e32 v[8:9], v[15:16], v[4:5]
	v_mul_f64_e32 v[4:5], v[13:14], v[4:5]
	s_delay_alu instid0(VALU_DEP_2) | instskip(NEXT) | instid1(VALU_DEP_2)
	v_fma_f64 v[8:9], v[13:14], v[2:3], v[8:9]
	v_fma_f64 v[4:5], v[2:3], v[15:16], -v[4:5]
	s_delay_alu instid0(VALU_DEP_2) | instskip(NEXT) | instid1(VALU_DEP_2)
	v_mul_f64_e32 v[2:3], s[0:1], v[8:9]
	v_mul_f64_e32 v[4:5], s[0:1], v[4:5]
	global_store_b128 v[10:11], v[2:5], off
	global_load_b128 v[2:5], v255, s[8:9] offset:17920
	ds_load_b128 v[6:9], v12 offset:17920
	ds_load_b128 v[13:16], v12 offset:19200
	s_wait_loadcnt_dscnt 0x1
	v_mul_f64_e32 v[17:18], v[8:9], v[4:5]
	v_mul_f64_e32 v[4:5], v[6:7], v[4:5]
	s_delay_alu instid0(VALU_DEP_2) | instskip(NEXT) | instid1(VALU_DEP_2)
	v_fma_f64 v[6:7], v[6:7], v[2:3], v[17:18]
	v_fma_f64 v[4:5], v[2:3], v[8:9], -v[4:5]
	s_delay_alu instid0(VALU_DEP_2) | instskip(NEXT) | instid1(VALU_DEP_2)
	v_mul_f64_e32 v[2:3], s[0:1], v[6:7]
	v_mul_f64_e32 v[4:5], s[0:1], v[4:5]
	v_add_co_u32 v6, vcc_lo, v10, s2
	s_wait_alu 0xfffd
	v_add_co_ci_u32_e32 v7, vcc_lo, s3, v11, vcc_lo
	global_store_b128 v[6:7], v[2:5], off
	global_load_b128 v[2:5], v255, s[8:9] offset:19200
	v_add_co_u32 v6, vcc_lo, v6, s2
	s_wait_alu 0xfffd
	v_add_co_ci_u32_e32 v7, vcc_lo, s3, v7, vcc_lo
	s_wait_loadcnt_dscnt 0x0
	v_mul_f64_e32 v[8:9], v[15:16], v[4:5]
	v_mul_f64_e32 v[4:5], v[13:14], v[4:5]
	s_delay_alu instid0(VALU_DEP_2) | instskip(NEXT) | instid1(VALU_DEP_2)
	v_fma_f64 v[8:9], v[13:14], v[2:3], v[8:9]
	v_fma_f64 v[4:5], v[2:3], v[15:16], -v[4:5]
	s_delay_alu instid0(VALU_DEP_2) | instskip(NEXT) | instid1(VALU_DEP_2)
	v_mul_f64_e32 v[2:3], s[0:1], v[8:9]
	v_mul_f64_e32 v[4:5], s[0:1], v[4:5]
	global_store_b128 v[6:7], v[2:5], off
	global_load_b128 v[2:5], v255, s[8:9] offset:20480
	ds_load_b128 v[6:9], v12 offset:20480
	s_wait_loadcnt_dscnt 0x0
	v_mul_f64_e32 v[10:11], v[8:9], v[4:5]
	v_mul_f64_e32 v[4:5], v[6:7], v[4:5]
	s_delay_alu instid0(VALU_DEP_2) | instskip(SKIP_3) | instid1(VALU_DEP_2)
	v_fma_f64 v[6:7], v[6:7], v[2:3], v[10:11]
	scratch_load_b32 v10, off, off offset:292 th:TH_LOAD_LU ; 4-byte Folded Reload
	v_fma_f64 v[4:5], v[2:3], v[8:9], -v[4:5]
	v_mul_f64_e32 v[2:3], s[0:1], v[6:7]
	v_mul_f64_e32 v[4:5], s[0:1], v[4:5]
	s_wait_loadcnt 0x0
	v_mad_co_u64_u32 v[8:9], null, s4, v10, 0
	s_delay_alu instid0(VALU_DEP_1) | instskip(NEXT) | instid1(VALU_DEP_1)
	v_mov_b32_e32 v6, v9
	v_mad_co_u64_u32 v[6:7], null, s5, v10, v[6:7]
	s_delay_alu instid0(VALU_DEP_1) | instskip(NEXT) | instid1(VALU_DEP_1)
	v_mov_b32_e32 v9, v6
	v_lshlrev_b64_e32 v[6:7], 4, v[8:9]
	s_delay_alu instid0(VALU_DEP_1) | instskip(SKIP_1) | instid1(VALU_DEP_2)
	v_add_co_u32 v0, vcc_lo, v0, v6
	s_wait_alu 0xfffd
	v_add_co_ci_u32_e32 v1, vcc_lo, v1, v7, vcc_lo
	global_store_b128 v[0:1], v[2:5], off
.LBB0_23:
	s_nop 0
	s_sendmsg sendmsg(MSG_DEALLOC_VGPRS)
	s_endpgm
	.section	.rodata,"a",@progbits
	.p2align	6, 0x0
	.amdhsa_kernel bluestein_single_back_len1360_dim1_dp_op_CI_CI
		.amdhsa_group_segment_fixed_size 65280
		.amdhsa_private_segment_fixed_size 480
		.amdhsa_kernarg_size 104
		.amdhsa_user_sgpr_count 2
		.amdhsa_user_sgpr_dispatch_ptr 0
		.amdhsa_user_sgpr_queue_ptr 0
		.amdhsa_user_sgpr_kernarg_segment_ptr 1
		.amdhsa_user_sgpr_dispatch_id 0
		.amdhsa_user_sgpr_private_segment_size 0
		.amdhsa_wavefront_size32 1
		.amdhsa_uses_dynamic_stack 0
		.amdhsa_enable_private_segment 1
		.amdhsa_system_sgpr_workgroup_id_x 1
		.amdhsa_system_sgpr_workgroup_id_y 0
		.amdhsa_system_sgpr_workgroup_id_z 0
		.amdhsa_system_sgpr_workgroup_info 0
		.amdhsa_system_vgpr_workitem_id 0
		.amdhsa_next_free_vgpr 256
		.amdhsa_next_free_sgpr 58
		.amdhsa_reserve_vcc 1
		.amdhsa_float_round_mode_32 0
		.amdhsa_float_round_mode_16_64 0
		.amdhsa_float_denorm_mode_32 3
		.amdhsa_float_denorm_mode_16_64 3
		.amdhsa_fp16_overflow 0
		.amdhsa_workgroup_processor_mode 1
		.amdhsa_memory_ordered 1
		.amdhsa_forward_progress 0
		.amdhsa_round_robin_scheduling 0
		.amdhsa_exception_fp_ieee_invalid_op 0
		.amdhsa_exception_fp_denorm_src 0
		.amdhsa_exception_fp_ieee_div_zero 0
		.amdhsa_exception_fp_ieee_overflow 0
		.amdhsa_exception_fp_ieee_underflow 0
		.amdhsa_exception_fp_ieee_inexact 0
		.amdhsa_exception_int_div_zero 0
	.end_amdhsa_kernel
	.text
.Lfunc_end0:
	.size	bluestein_single_back_len1360_dim1_dp_op_CI_CI, .Lfunc_end0-bluestein_single_back_len1360_dim1_dp_op_CI_CI
                                        ; -- End function
	.section	.AMDGPU.csdata,"",@progbits
; Kernel info:
; codeLenInByte = 27024
; NumSgprs: 60
; NumVgprs: 256
; ScratchSize: 480
; MemoryBound: 0
; FloatMode: 240
; IeeeMode: 1
; LDSByteSize: 65280 bytes/workgroup (compile time only)
; SGPRBlocks: 7
; VGPRBlocks: 31
; NumSGPRsForWavesPerEU: 60
; NumVGPRsForWavesPerEU: 256
; Occupancy: 4
; WaveLimiterHint : 1
; COMPUTE_PGM_RSRC2:SCRATCH_EN: 1
; COMPUTE_PGM_RSRC2:USER_SGPR: 2
; COMPUTE_PGM_RSRC2:TRAP_HANDLER: 0
; COMPUTE_PGM_RSRC2:TGID_X_EN: 1
; COMPUTE_PGM_RSRC2:TGID_Y_EN: 0
; COMPUTE_PGM_RSRC2:TGID_Z_EN: 0
; COMPUTE_PGM_RSRC2:TIDIG_COMP_CNT: 0
	.text
	.p2alignl 7, 3214868480
	.fill 96, 4, 3214868480
	.type	__hip_cuid_8cad51c3a910e930,@object ; @__hip_cuid_8cad51c3a910e930
	.section	.bss,"aw",@nobits
	.globl	__hip_cuid_8cad51c3a910e930
__hip_cuid_8cad51c3a910e930:
	.byte	0                               ; 0x0
	.size	__hip_cuid_8cad51c3a910e930, 1

	.ident	"AMD clang version 19.0.0git (https://github.com/RadeonOpenCompute/llvm-project roc-6.4.0 25133 c7fe45cf4b819c5991fe208aaa96edf142730f1d)"
	.section	".note.GNU-stack","",@progbits
	.addrsig
	.addrsig_sym __hip_cuid_8cad51c3a910e930
	.amdgpu_metadata
---
amdhsa.kernels:
  - .args:
      - .actual_access:  read_only
        .address_space:  global
        .offset:         0
        .size:           8
        .value_kind:     global_buffer
      - .actual_access:  read_only
        .address_space:  global
        .offset:         8
        .size:           8
        .value_kind:     global_buffer
      - .actual_access:  read_only
        .address_space:  global
        .offset:         16
        .size:           8
        .value_kind:     global_buffer
      - .actual_access:  read_only
        .address_space:  global
        .offset:         24
        .size:           8
        .value_kind:     global_buffer
      - .actual_access:  read_only
        .address_space:  global
        .offset:         32
        .size:           8
        .value_kind:     global_buffer
      - .offset:         40
        .size:           8
        .value_kind:     by_value
      - .address_space:  global
        .offset:         48
        .size:           8
        .value_kind:     global_buffer
      - .address_space:  global
        .offset:         56
        .size:           8
        .value_kind:     global_buffer
      - .address_space:  global
        .offset:         64
        .size:           8
        .value_kind:     global_buffer
      - .address_space:  global
        .offset:         72
        .size:           8
        .value_kind:     global_buffer
      - .offset:         80
        .size:           4
        .value_kind:     by_value
      - .address_space:  global
        .offset:         88
        .size:           8
        .value_kind:     global_buffer
      - .address_space:  global
        .offset:         96
        .size:           8
        .value_kind:     global_buffer
    .group_segment_fixed_size: 65280
    .kernarg_segment_align: 8
    .kernarg_segment_size: 104
    .language:       OpenCL C
    .language_version:
      - 2
      - 0
    .max_flat_workgroup_size: 255
    .name:           bluestein_single_back_len1360_dim1_dp_op_CI_CI
    .private_segment_fixed_size: 480
    .sgpr_count:     60
    .sgpr_spill_count: 0
    .symbol:         bluestein_single_back_len1360_dim1_dp_op_CI_CI.kd
    .uniform_work_group_size: 1
    .uses_dynamic_stack: false
    .vgpr_count:     256
    .vgpr_spill_count: 125
    .wavefront_size: 32
    .workgroup_processor_mode: 1
amdhsa.target:   amdgcn-amd-amdhsa--gfx1201
amdhsa.version:
  - 1
  - 2
...

	.end_amdgpu_metadata
